;; amdgpu-corpus repo=ROCm/rocFFT kind=compiled arch=gfx906 opt=O3
	.text
	.amdgcn_target "amdgcn-amd-amdhsa--gfx906"
	.amdhsa_code_object_version 6
	.protected	fft_rtc_fwd_len2040_factors_17_4_3_10_wgs_170_tpt_170_halfLds_sp_ip_CI_unitstride_sbrr_dirReg ; -- Begin function fft_rtc_fwd_len2040_factors_17_4_3_10_wgs_170_tpt_170_halfLds_sp_ip_CI_unitstride_sbrr_dirReg
	.globl	fft_rtc_fwd_len2040_factors_17_4_3_10_wgs_170_tpt_170_halfLds_sp_ip_CI_unitstride_sbrr_dirReg
	.p2align	8
	.type	fft_rtc_fwd_len2040_factors_17_4_3_10_wgs_170_tpt_170_halfLds_sp_ip_CI_unitstride_sbrr_dirReg,@function
fft_rtc_fwd_len2040_factors_17_4_3_10_wgs_170_tpt_170_halfLds_sp_ip_CI_unitstride_sbrr_dirReg: ; @fft_rtc_fwd_len2040_factors_17_4_3_10_wgs_170_tpt_170_halfLds_sp_ip_CI_unitstride_sbrr_dirReg
; %bb.0:
	s_load_dwordx2 s[12:13], s[4:5], 0x50
	s_load_dwordx4 s[8:11], s[4:5], 0x0
	s_load_dwordx2 s[2:3], s[4:5], 0x18
	v_mul_u32_u24_e32 v1, 0x182, v0
	v_add_u32_sdwa v5, s6, v1 dst_sel:DWORD dst_unused:UNUSED_PAD src0_sel:DWORD src1_sel:WORD_1
	v_mov_b32_e32 v3, 0
	s_waitcnt lgkmcnt(0)
	v_cmp_lt_u64_e64 s[0:1], s[10:11], 2
	v_mov_b32_e32 v1, 0
	v_mov_b32_e32 v6, v3
	s_and_b64 vcc, exec, s[0:1]
	v_mov_b32_e32 v2, 0
	s_cbranch_vccnz .LBB0_8
; %bb.1:
	s_load_dwordx2 s[0:1], s[4:5], 0x10
	s_add_u32 s6, s2, 8
	s_addc_u32 s7, s3, 0
	v_mov_b32_e32 v1, 0
	v_mov_b32_e32 v2, 0
	s_waitcnt lgkmcnt(0)
	s_add_u32 s14, s0, 8
	s_addc_u32 s15, s1, 0
	s_mov_b64 s[16:17], 1
.LBB0_2:                                ; =>This Inner Loop Header: Depth=1
	s_load_dwordx2 s[18:19], s[14:15], 0x0
                                        ; implicit-def: $vgpr7_vgpr8
	s_waitcnt lgkmcnt(0)
	v_or_b32_e32 v4, s19, v6
	v_cmp_ne_u64_e32 vcc, 0, v[3:4]
	s_and_saveexec_b64 s[0:1], vcc
	s_xor_b64 s[20:21], exec, s[0:1]
	s_cbranch_execz .LBB0_4
; %bb.3:                                ;   in Loop: Header=BB0_2 Depth=1
	v_cvt_f32_u32_e32 v4, s18
	v_cvt_f32_u32_e32 v7, s19
	s_sub_u32 s0, 0, s18
	s_subb_u32 s1, 0, s19
	v_mac_f32_e32 v4, 0x4f800000, v7
	v_rcp_f32_e32 v4, v4
	v_mul_f32_e32 v4, 0x5f7ffffc, v4
	v_mul_f32_e32 v7, 0x2f800000, v4
	v_trunc_f32_e32 v7, v7
	v_mac_f32_e32 v4, 0xcf800000, v7
	v_cvt_u32_f32_e32 v7, v7
	v_cvt_u32_f32_e32 v4, v4
	v_mul_lo_u32 v8, s0, v7
	v_mul_hi_u32 v9, s0, v4
	v_mul_lo_u32 v11, s1, v4
	v_mul_lo_u32 v10, s0, v4
	v_add_u32_e32 v8, v9, v8
	v_add_u32_e32 v8, v8, v11
	v_mul_hi_u32 v9, v4, v10
	v_mul_lo_u32 v11, v4, v8
	v_mul_hi_u32 v13, v4, v8
	v_mul_hi_u32 v12, v7, v10
	v_mul_lo_u32 v10, v7, v10
	v_mul_hi_u32 v14, v7, v8
	v_add_co_u32_e32 v9, vcc, v9, v11
	v_addc_co_u32_e32 v11, vcc, 0, v13, vcc
	v_mul_lo_u32 v8, v7, v8
	v_add_co_u32_e32 v9, vcc, v9, v10
	v_addc_co_u32_e32 v9, vcc, v11, v12, vcc
	v_addc_co_u32_e32 v10, vcc, 0, v14, vcc
	v_add_co_u32_e32 v8, vcc, v9, v8
	v_addc_co_u32_e32 v9, vcc, 0, v10, vcc
	v_add_co_u32_e32 v4, vcc, v4, v8
	v_addc_co_u32_e32 v7, vcc, v7, v9, vcc
	v_mul_lo_u32 v8, s0, v7
	v_mul_hi_u32 v9, s0, v4
	v_mul_lo_u32 v10, s1, v4
	v_mul_lo_u32 v11, s0, v4
	v_add_u32_e32 v8, v9, v8
	v_add_u32_e32 v8, v8, v10
	v_mul_lo_u32 v12, v4, v8
	v_mul_hi_u32 v13, v4, v11
	v_mul_hi_u32 v14, v4, v8
	;; [unrolled: 1-line block ×3, first 2 shown]
	v_mul_lo_u32 v11, v7, v11
	v_mul_hi_u32 v9, v7, v8
	v_add_co_u32_e32 v12, vcc, v13, v12
	v_addc_co_u32_e32 v13, vcc, 0, v14, vcc
	v_mul_lo_u32 v8, v7, v8
	v_add_co_u32_e32 v11, vcc, v12, v11
	v_addc_co_u32_e32 v10, vcc, v13, v10, vcc
	v_addc_co_u32_e32 v9, vcc, 0, v9, vcc
	v_add_co_u32_e32 v8, vcc, v10, v8
	v_addc_co_u32_e32 v9, vcc, 0, v9, vcc
	v_add_co_u32_e32 v4, vcc, v4, v8
	v_addc_co_u32_e32 v9, vcc, v7, v9, vcc
	v_mad_u64_u32 v[7:8], s[0:1], v5, v9, 0
	v_mul_hi_u32 v10, v5, v4
	v_add_co_u32_e32 v11, vcc, v10, v7
	v_addc_co_u32_e32 v12, vcc, 0, v8, vcc
	v_mad_u64_u32 v[7:8], s[0:1], v6, v4, 0
	v_mad_u64_u32 v[9:10], s[0:1], v6, v9, 0
	v_add_co_u32_e32 v4, vcc, v11, v7
	v_addc_co_u32_e32 v4, vcc, v12, v8, vcc
	v_addc_co_u32_e32 v7, vcc, 0, v10, vcc
	v_add_co_u32_e32 v4, vcc, v4, v9
	v_addc_co_u32_e32 v9, vcc, 0, v7, vcc
	v_mul_lo_u32 v10, s19, v4
	v_mul_lo_u32 v11, s18, v9
	v_mad_u64_u32 v[7:8], s[0:1], s18, v4, 0
	v_add3_u32 v8, v8, v11, v10
	v_sub_u32_e32 v10, v6, v8
	v_mov_b32_e32 v11, s19
	v_sub_co_u32_e32 v7, vcc, v5, v7
	v_subb_co_u32_e64 v10, s[0:1], v10, v11, vcc
	v_subrev_co_u32_e64 v11, s[0:1], s18, v7
	v_subbrev_co_u32_e64 v10, s[0:1], 0, v10, s[0:1]
	v_cmp_le_u32_e64 s[0:1], s19, v10
	v_cndmask_b32_e64 v12, 0, -1, s[0:1]
	v_cmp_le_u32_e64 s[0:1], s18, v11
	v_cndmask_b32_e64 v11, 0, -1, s[0:1]
	v_cmp_eq_u32_e64 s[0:1], s19, v10
	v_cndmask_b32_e64 v10, v12, v11, s[0:1]
	v_add_co_u32_e64 v11, s[0:1], 2, v4
	v_addc_co_u32_e64 v12, s[0:1], 0, v9, s[0:1]
	v_add_co_u32_e64 v13, s[0:1], 1, v4
	v_addc_co_u32_e64 v14, s[0:1], 0, v9, s[0:1]
	v_subb_co_u32_e32 v8, vcc, v6, v8, vcc
	v_cmp_ne_u32_e64 s[0:1], 0, v10
	v_cmp_le_u32_e32 vcc, s19, v8
	v_cndmask_b32_e64 v10, v14, v12, s[0:1]
	v_cndmask_b32_e64 v12, 0, -1, vcc
	v_cmp_le_u32_e32 vcc, s18, v7
	v_cndmask_b32_e64 v7, 0, -1, vcc
	v_cmp_eq_u32_e32 vcc, s19, v8
	v_cndmask_b32_e32 v7, v12, v7, vcc
	v_cmp_ne_u32_e32 vcc, 0, v7
	v_cndmask_b32_e64 v7, v13, v11, s[0:1]
	v_cndmask_b32_e32 v8, v9, v10, vcc
	v_cndmask_b32_e32 v7, v4, v7, vcc
.LBB0_4:                                ;   in Loop: Header=BB0_2 Depth=1
	s_andn2_saveexec_b64 s[0:1], s[20:21]
	s_cbranch_execz .LBB0_6
; %bb.5:                                ;   in Loop: Header=BB0_2 Depth=1
	v_cvt_f32_u32_e32 v4, s18
	s_sub_i32 s20, 0, s18
	v_rcp_iflag_f32_e32 v4, v4
	v_mul_f32_e32 v4, 0x4f7ffffe, v4
	v_cvt_u32_f32_e32 v4, v4
	v_mul_lo_u32 v7, s20, v4
	v_mul_hi_u32 v7, v4, v7
	v_add_u32_e32 v4, v4, v7
	v_mul_hi_u32 v4, v5, v4
	v_mul_lo_u32 v7, v4, s18
	v_add_u32_e32 v8, 1, v4
	v_sub_u32_e32 v7, v5, v7
	v_subrev_u32_e32 v9, s18, v7
	v_cmp_le_u32_e32 vcc, s18, v7
	v_cndmask_b32_e32 v7, v7, v9, vcc
	v_cndmask_b32_e32 v4, v4, v8, vcc
	v_add_u32_e32 v8, 1, v4
	v_cmp_le_u32_e32 vcc, s18, v7
	v_cndmask_b32_e32 v7, v4, v8, vcc
	v_mov_b32_e32 v8, v3
.LBB0_6:                                ;   in Loop: Header=BB0_2 Depth=1
	s_or_b64 exec, exec, s[0:1]
	v_mul_lo_u32 v4, v8, s18
	v_mul_lo_u32 v11, v7, s19
	v_mad_u64_u32 v[9:10], s[0:1], v7, s18, 0
	s_load_dwordx2 s[0:1], s[6:7], 0x0
	s_add_u32 s16, s16, 1
	v_add3_u32 v4, v10, v11, v4
	v_sub_co_u32_e32 v5, vcc, v5, v9
	v_subb_co_u32_e32 v4, vcc, v6, v4, vcc
	s_waitcnt lgkmcnt(0)
	v_mul_lo_u32 v4, s0, v4
	v_mul_lo_u32 v6, s1, v5
	v_mad_u64_u32 v[1:2], s[0:1], s0, v5, v[1:2]
	s_addc_u32 s17, s17, 0
	s_add_u32 s6, s6, 8
	v_add3_u32 v2, v6, v2, v4
	v_mov_b32_e32 v4, s10
	v_mov_b32_e32 v5, s11
	s_addc_u32 s7, s7, 0
	v_cmp_ge_u64_e32 vcc, s[16:17], v[4:5]
	s_add_u32 s14, s14, 8
	s_addc_u32 s15, s15, 0
	s_cbranch_vccnz .LBB0_9
; %bb.7:                                ;   in Loop: Header=BB0_2 Depth=1
	v_mov_b32_e32 v5, v7
	v_mov_b32_e32 v6, v8
	s_branch .LBB0_2
.LBB0_8:
	v_mov_b32_e32 v8, v6
	v_mov_b32_e32 v7, v5
.LBB0_9:
	s_lshl_b64 s[0:1], s[10:11], 3
	s_add_u32 s0, s2, s0
	s_addc_u32 s1, s3, s1
	s_load_dwordx2 s[2:3], s[0:1], 0x0
	s_load_dwordx2 s[6:7], s[4:5], 0x20
	v_mov_b32_e32 v11, 0
	v_mov_b32_e32 v10, 0
                                        ; implicit-def: $vgpr44
                                        ; implicit-def: $vgpr46
                                        ; implicit-def: $vgpr42
                                        ; implicit-def: $vgpr38
                                        ; implicit-def: $vgpr36
                                        ; implicit-def: $vgpr32
                                        ; implicit-def: $vgpr30
                                        ; implicit-def: $vgpr22
                                        ; implicit-def: $vgpr16
                                        ; implicit-def: $vgpr18
                                        ; implicit-def: $vgpr26
                                        ; implicit-def: $vgpr24
                                        ; implicit-def: $vgpr20
                                        ; implicit-def: $vgpr28
                                        ; implicit-def: $vgpr34
                                        ; implicit-def: $vgpr40
	s_waitcnt lgkmcnt(0)
	v_mad_u64_u32 v[1:2], s[0:1], s2, v7, v[1:2]
	s_mov_b32 s0, 0x1818182
	v_mul_lo_u32 v3, s2, v8
	v_mul_lo_u32 v4, s3, v7
	v_mul_hi_u32 v5, v0, s0
	v_cmp_gt_u64_e32 vcc, s[6:7], v[7:8]
	s_movk_i32 s0, 0x78
	v_add3_u32 v2, v4, v2, v3
	v_mul_u32_u24_e32 v3, 0xaa, v5
	v_sub_u32_e32 v0, v0, v3
	v_cmp_gt_u32_e64 s[0:1], s0, v0
	v_lshlrev_b64 v[2:3], 3, v[1:2]
	s_and_b64 s[2:3], vcc, s[0:1]
	s_and_saveexec_b64 s[4:5], s[2:3]
	s_cbranch_execz .LBB0_11
; %bb.10:
	v_mov_b32_e32 v1, 0
	v_mov_b32_e32 v4, s13
	v_add_co_u32_e64 v14, s[2:3], s12, v2
	v_addc_co_u32_e64 v15, s[2:3], v4, v3, s[2:3]
	v_lshlrev_b64 v[4:5], 3, v[0:1]
	v_or_b32_e32 v10, 0x780, v0
	v_add_co_u32_e64 v4, s[2:3], v14, v4
	v_addc_co_u32_e64 v5, s[2:3], v15, v5, s[2:3]
	s_movk_i32 s2, 0x1000
	v_add_co_u32_e64 v6, s[2:3], s2, v4
	v_addc_co_u32_e64 v7, s[2:3], 0, v5, s[2:3]
	s_movk_i32 s2, 0x2000
	;; [unrolled: 3-line block ×3, first 2 shown]
	v_mov_b32_e32 v11, v1
	v_add_co_u32_e64 v12, s[2:3], s2, v4
	v_lshlrev_b64 v[10:11], 3, v[10:11]
	v_addc_co_u32_e64 v13, s[2:3], 0, v5, s[2:3]
	v_add_co_u32_e64 v47, s[2:3], v14, v10
	v_addc_co_u32_e64 v48, s[2:3], v15, v11, s[2:3]
	global_load_dwordx2 v[10:11], v[4:5], off
	global_load_dwordx2 v[43:44], v[4:5], off offset:960
	global_load_dwordx2 v[45:46], v[4:5], off offset:1920
	global_load_dwordx2 v[41:42], v[4:5], off offset:2880
	global_load_dwordx2 v[37:38], v[4:5], off offset:3840
	global_load_dwordx2 v[35:36], v[6:7], off offset:704
	global_load_dwordx2 v[31:32], v[6:7], off offset:1664
	global_load_dwordx2 v[29:30], v[6:7], off offset:2624
	global_load_dwordx2 v[21:22], v[6:7], off offset:3584
	global_load_dwordx2 v[15:16], v[8:9], off offset:448
	global_load_dwordx2 v[17:18], v[8:9], off offset:1408
	global_load_dwordx2 v[39:40], v[8:9], off offset:2368
	global_load_dwordx2 v[33:34], v[8:9], off offset:3328
	global_load_dwordx2 v[27:28], v[12:13], off offset:192
	global_load_dwordx2 v[19:20], v[12:13], off offset:1152
                                        ; kill: killed $vgpr8 killed $vgpr9
                                        ; kill: killed $vgpr4 killed $vgpr5
                                        ; kill: killed $vgpr6 killed $vgpr7
	global_load_dwordx2 v[23:24], v[12:13], off offset:2112
	global_load_dwordx2 v[25:26], v[47:48], off
.LBB0_11:
	s_or_b64 exec, exec, s[4:5]
	s_waitcnt vmcnt(0)
	v_add_f32_e32 v49, v43, v25
	v_mul_f32_e32 v1, 0x3f3d2fb0, v49
	v_add_f32_e32 v52, v45, v23
	v_sub_f32_e32 v55, v44, v26
	v_mov_b32_e32 v4, v1
	v_mul_f32_e32 v9, 0x3dbcf732, v52
	v_fmac_f32_e32 v4, 0xbf2c7751, v55
	v_sub_f32_e32 v59, v46, v24
	v_mov_b32_e32 v5, v9
	v_add_f32_e32 v4, v10, v4
	v_fmac_f32_e32 v5, 0xbf7ee86f, v59
	v_mul_f32_e32 v12, 0x3ee437d1, v49
	v_add_f32_e32 v4, v4, v5
	v_mov_b32_e32 v5, v12
	v_mul_f32_e32 v13, 0xbf1a4643, v52
	v_fmac_f32_e32 v5, 0xbf65296c, v55
	v_mov_b32_e32 v6, v13
	v_add_f32_e32 v56, v41, v19
	v_add_f32_e32 v5, v10, v5
	v_fmac_f32_e32 v6, 0xbf4c4adb, v59
	v_mul_f32_e32 v14, 0xbf1a4643, v56
	v_add_f32_e32 v5, v5, v6
	v_sub_f32_e32 v64, v42, v20
	v_mov_b32_e32 v6, v14
	v_fmac_f32_e32 v6, 0xbf4c4adb, v64
	v_mul_f32_e32 v47, 0xbf7ba420, v56
	v_add_f32_e32 v4, v4, v6
	v_mov_b32_e32 v6, v47
	v_add_f32_e32 v60, v37, v27
	v_fmac_f32_e32 v6, 0x3e3c28d5, v64
	v_mul_f32_e32 v48, 0xbf7ba420, v60
	v_add_f32_e32 v5, v5, v6
	v_sub_f32_e32 v63, v38, v28
	v_mov_b32_e32 v6, v48
	v_fmac_f32_e32 v6, 0xbe3c28d5, v63
	v_mul_f32_e32 v50, 0xbe8c1d8e, v60
	v_add_f32_e32 v4, v4, v6
	v_mov_b32_e32 v6, v50
	;; [unrolled: 10-line block ×6, first 2 shown]
	v_fmac_f32_e32 v4, 0xbf06c442, v72
	v_mul_f32_e32 v73, 0x3dbcf732, v49
	v_add_f32_e32 v4, v4, v6
	v_mov_b32_e32 v6, v73
	v_mul_f32_e32 v74, 0xbf7ba420, v52
	v_fmac_f32_e32 v6, 0xbf7ee86f, v55
	v_mov_b32_e32 v7, v74
	v_add_f32_e32 v6, v10, v6
	v_fmac_f32_e32 v7, 0xbe3c28d5, v59
	v_mul_f32_e32 v86, 0xbe8c1d8e, v49
	v_add_f32_e32 v6, v6, v7
	v_mov_b32_e32 v7, v86
	v_mul_f32_e32 v88, 0xbf59a7d5, v52
	v_fmac_f32_e32 v7, 0xbf763a35, v55
	v_mov_b32_e32 v8, v88
	v_add_f32_e32 v7, v10, v7
	v_fmac_f32_e32 v8, 0x3f06c442, v59
	v_mul_f32_e32 v75, 0xbe8c1d8e, v56
	v_add_f32_e32 v7, v7, v8
	v_mov_b32_e32 v8, v75
	v_fmac_f32_e32 v8, 0x3f763a35, v64
	v_mul_f32_e32 v89, 0x3f3d2fb0, v56
	v_add_f32_e32 v6, v6, v8
	v_mov_b32_e32 v8, v89
	;; [unrolled: 4-line block ×13, first 2 shown]
	v_mul_f32_e32 v78, 0x3f3d2fb0, v52
	v_fmac_f32_e32 v8, 0xbeb8f4ab, v55
	v_mov_b32_e32 v80, v78
	v_add_f32_e32 v8, v10, v8
	v_fmac_f32_e32 v80, 0xbf2c7751, v59
	v_add_f32_e32 v8, v8, v80
	v_mul_f32_e32 v80, 0x3ee437d1, v56
	v_mov_b32_e32 v81, v80
	v_fmac_f32_e32 v81, 0xbf65296c, v64
	v_add_f32_e32 v8, v8, v81
	v_mul_f32_e32 v81, 0x3dbcf732, v60
	v_mov_b32_e32 v82, v81
	;; [unrolled: 4-line block ×6, first 2 shown]
	v_fmac_f32_e32 v98, 0xbe3c28d5, v72
	s_mov_b32 s6, 0x3f6eb680
	s_mov_b32 s4, 0x3f3d2fb0
	;; [unrolled: 1-line block ×8, first 2 shown]
	v_add_f32_e32 v8, v98, v8
	s_and_saveexec_b64 s[2:3], s[0:1]
	s_cbranch_execz .LBB0_13
; %bb.12:
	v_mul_f32_e32 v112, 0xbe3c28d5, v55
	v_mov_b32_e32 v113, v112
	v_mul_f32_e32 v114, 0x3eb8f4ab, v59
	v_fmac_f32_e32 v113, 0xbf7ba420, v49
	v_mov_b32_e32 v115, v114
	v_add_f32_e32 v113, v10, v113
	v_fmac_f32_e32 v115, 0x3f6eb680, v52
	v_add_f32_e32 v113, v113, v115
	v_mul_f32_e32 v115, 0xbf06c442, v64
	v_mov_b32_e32 v116, v115
	v_fmac_f32_e32 v116, 0xbf59a7d5, v56
	v_add_f32_e32 v113, v113, v116
	v_mul_f32_e32 v116, 0x3f2c7751, v63
	v_mov_b32_e32 v117, v116
	v_fmac_f32_e32 v117, 0x3f3d2fb0, v60
	v_add_f32_e32 v113, v113, v117
	v_mul_f32_e32 v117, 0xbf4c4adb, v66
	v_mov_b32_e32 v118, v117
	v_fmac_f32_e32 v118, 0xbf1a4643, v65
	v_add_f32_e32 v113, v113, v118
	v_mul_f32_e32 v118, 0x3f65296c, v68
	v_fma_f32 v112, v49, s10, -v112
	v_mov_b32_e32 v119, v118
	v_add_f32_e32 v112, v10, v112
	v_fma_f32 v114, v52, s6, -v114
	v_fmac_f32_e32 v119, 0x3ee437d1, v69
	v_add_f32_e32 v112, v112, v114
	v_fma_f32 v114, v56, s7, -v115
	v_add_f32_e32 v113, v113, v119
	v_mul_f32_e32 v119, 0xbf763a35, v70
	v_add_f32_e32 v112, v112, v114
	v_fma_f32 v114, v60, s4, -v116
	v_mov_b32_e32 v120, v119
	v_add_f32_e32 v112, v112, v114
	v_fma_f32 v114, v65, s5, -v117
	v_fmac_f32_e32 v120, 0xbe8c1d8e, v71
	v_add_f32_e32 v112, v112, v114
	v_fma_f32 v114, v69, s14, -v118
	v_add_f32_e32 v113, v120, v113
	v_mul_f32_e32 v120, 0x3f7ee86f, v72
	v_add_f32_e32 v112, v112, v114
	v_fma_f32 v114, v71, s15, -v119
	v_add_f32_e32 v112, v114, v112
	v_fma_f32 v114, v76, s11, -v120
	v_add_f32_e32 v112, v114, v112
	v_mul_f32_e32 v114, 0xbf06c442, v55
	v_mov_b32_e32 v115, v114
	v_mul_f32_e32 v116, 0x3f65296c, v59
	v_fmac_f32_e32 v115, 0xbf59a7d5, v49
	v_mov_b32_e32 v117, v116
	v_add_f32_e32 v115, v10, v115
	v_fmac_f32_e32 v117, 0x3ee437d1, v52
	v_add_f32_e32 v115, v115, v117
	v_mul_f32_e32 v117, 0xbf7ee86f, v64
	v_mov_b32_e32 v118, v117
	v_fmac_f32_e32 v118, 0x3dbcf732, v56
	v_add_f32_e32 v115, v115, v118
	v_mul_f32_e32 v118, 0x3f4c4adb, v63
	v_mov_b32_e32 v119, v118
	;; [unrolled: 4-line block ×3, first 2 shown]
	v_mov_b32_e32 v120, v119
	v_fmac_f32_e32 v120, 0x3f6eb680, v65
	v_fmac_f32_e32 v121, 0x3dbcf732, v76
	v_add_f32_e32 v115, v115, v120
	v_mul_f32_e32 v120, 0xbe3c28d5, v68
	v_fma_f32 v114, v49, s7, -v114
	v_add_f32_e32 v113, v121, v113
	v_mov_b32_e32 v121, v120
	v_add_f32_e32 v114, v10, v114
	v_fma_f32 v116, v52, s14, -v116
	v_fmac_f32_e32 v121, 0xbf7ba420, v69
	v_add_f32_e32 v114, v114, v116
	v_fma_f32 v116, v56, s11, -v117
	v_add_f32_e32 v115, v115, v121
	v_mul_f32_e32 v121, 0x3f2c7751, v70
	v_add_f32_e32 v114, v114, v116
	v_fma_f32 v116, v60, s5, -v118
	v_mov_b32_e32 v122, v121
	v_add_f32_e32 v114, v114, v116
	v_fma_f32 v116, v65, s6, -v119
	v_fmac_f32_e32 v122, 0x3f3d2fb0, v71
	v_add_f32_e32 v114, v114, v116
	v_fma_f32 v116, v69, s10, -v120
	v_add_f32_e32 v115, v122, v115
	v_mul_f32_e32 v122, 0xbf763a35, v72
	v_add_f32_e32 v114, v114, v116
	v_fma_f32 v116, v71, s4, -v121
	v_mul_f32_e32 v98, 0xbeb8f4ab, v55
	v_mul_f32_e32 v99, 0xbf2c7751, v55
	;; [unrolled: 1-line block ×5, first 2 shown]
	v_add_f32_e32 v114, v116, v114
	v_fma_f32 v116, v76, s15, -v122
	v_mul_f32_e32 v55, 0xbf4c4adb, v55
	v_mul_f32_e32 v103, 0xbf2c7751, v59
	;; [unrolled: 1-line block ×6, first 2 shown]
	v_mov_b32_e32 v123, v122
	v_add_f32_e32 v114, v116, v114
	v_mov_b32_e32 v116, v55
	v_mul_f32_e32 v59, 0x3f763a35, v59
	v_fmac_f32_e32 v123, 0xbe8c1d8e, v76
	v_fmac_f32_e32 v116, 0xbf1a4643, v49
	v_mov_b32_e32 v117, v59
	v_mul_f32_e32 v108, 0xbf65296c, v64
	v_mul_f32_e32 v109, 0xbf4c4adb, v64
	;; [unrolled: 1-line block ×4, first 2 shown]
	v_add_f32_e32 v115, v123, v115
	v_mul_f32_e32 v123, 0x3f2c7751, v64
	v_add_f32_e32 v116, v10, v116
	v_fmac_f32_e32 v117, 0xbe8c1d8e, v52
	v_mul_f32_e32 v64, 0xbeb8f4ab, v64
	v_add_f32_e32 v116, v116, v117
	v_mov_b32_e32 v117, v64
	v_fmac_f32_e32 v117, 0x3f6eb680, v56
	v_add_f32_e32 v116, v116, v117
	v_mul_f32_e32 v117, 0xbf06c442, v63
	v_mov_b32_e32 v118, v117
	v_fmac_f32_e32 v118, 0xbf59a7d5, v60
	v_add_f32_e32 v116, v116, v118
	v_mul_f32_e32 v118, 0x3f7ee86f, v66
	;; [unrolled: 4-line block ×4, first 2 shown]
	v_mov_b32_e32 v121, v120
	v_fma_f32 v49, v49, s5, -v55
	v_fmac_f32_e32 v121, 0xbf7ba420, v71
	v_fma_f32 v52, v52, s15, -v59
	v_add_f32_e32 v49, v10, v49
	v_add_f32_e32 v116, v121, v116
	v_mul_f32_e32 v121, 0x3f65296c, v72
	v_add_f32_e32 v49, v49, v52
	v_fma_f32 v56, v56, s6, -v64
	v_mov_b32_e32 v122, v121
	v_add_f32_e32 v49, v49, v56
	v_fma_f32 v60, v60, s7, -v117
	v_sub_f32_e32 v86, v86, v102
	v_sub_f32_e32 v1, v1, v99
	v_fmac_f32_e32 v122, 0x3ee437d1, v76
	v_add_f32_e32 v49, v49, v60
	v_fma_f32 v65, v65, s11, -v118
	v_sub_f32_e32 v88, v88, v107
	v_add_f32_e32 v86, v10, v86
	v_add_f32_e32 v1, v10, v1
	v_sub_f32_e32 v9, v9, v104
	v_add_f32_e32 v116, v122, v116
	v_mul_f32_e32 v122, 0xbf7ee86f, v63
	v_mul_f32_e32 v55, 0xbe3c28d5, v63
	v_mul_f32_e32 v59, 0x3f763a35, v63
	v_mul_f32_e32 v52, 0x3eb8f4ab, v63
	v_mul_f32_e32 v63, 0xbf65296c, v63
	v_add_f32_e32 v49, v49, v65
	v_fma_f32 v69, v69, s4, -v119
	v_add_f32_e32 v86, v86, v88
	v_sub_f32_e32 v89, v89, v123
	v_add_f32_e32 v1, v1, v9
	v_sub_f32_e32 v9, v14, v109
	v_mul_f32_e32 v64, 0xbf763a35, v66
	v_mul_f32_e32 v56, 0x3f06c442, v66
	v_mul_f32_e32 v117, 0x3f2c7751, v66
	v_mul_f32_e32 v60, 0xbf65296c, v66
	v_mul_f32_e32 v66, 0xbe3c28d5, v66
	v_add_f32_e32 v49, v49, v69
	v_fma_f32 v71, v71, s10, -v120
	v_add_f32_e32 v86, v86, v89
	v_sub_f32_e32 v63, v91, v63
	v_add_f32_e32 v1, v1, v9
	v_sub_f32_e32 v9, v48, v55
	;; [unrolled: 11-line block ×3, first 2 shown]
	v_mul_f32_e32 v120, 0xbf06c442, v70
	v_mul_f32_e32 v71, 0x3f65296c, v70
	;; [unrolled: 1-line block ×3, first 2 shown]
	v_add_f32_e32 v49, v76, v49
	v_mul_f32_e32 v76, 0x3f4c4adb, v70
	v_mul_f32_e32 v70, 0xbeb8f4ab, v70
	v_add_f32_e32 v63, v63, v66
	v_sub_f32_e32 v66, v95, v68
	v_add_f32_e32 v1, v1, v9
	v_sub_f32_e32 v9, v54, v65
	v_mul_f32_e32 v102, 0xbe3c28d5, v72
	v_mul_f32_e32 v107, 0x3eb8f4ab, v72
	;; [unrolled: 1-line block ×5, first 2 shown]
	v_add_f32_e32 v63, v63, v66
	v_sub_f32_e32 v66, v96, v70
	v_add_f32_e32 v1, v1, v9
	v_sub_f32_e32 v9, v58, v71
	v_add_f32_e32 v63, v66, v63
	v_sub_f32_e32 v66, v97, v72
	v_add_f32_e32 v1, v9, v1
	v_sub_f32_e32 v9, v62, v107
	v_add_f32_e32 v63, v66, v63
	v_sub_f32_e32 v66, v73, v101
	v_sub_f32_e32 v12, v12, v100
	v_add_f32_e32 v1, v9, v1
	v_sub_f32_e32 v9, v77, v98
	v_add_f32_e32 v66, v10, v66
	v_add_f32_e32 v12, v10, v12
	;; [unrolled: 1-line block ×4, first 2 shown]
	v_sub_f32_e32 v13, v13, v105
	v_add_f32_e32 v10, v10, v45
	v_add_f32_e32 v12, v12, v13
	v_sub_f32_e32 v13, v47, v110
	v_add_f32_e32 v10, v10, v41
	v_add_f32_e32 v12, v12, v13
	;; [unrolled: 3-line block ×7, first 2 shown]
	v_sub_f32_e32 v13, v78, v103
	v_add_f32_e32 v10, v10, v15
	v_sub_f32_e32 v68, v74, v106
	v_add_f32_e32 v9, v9, v13
	;; [unrolled: 2-line block ×3, first 2 shown]
	v_add_f32_e32 v66, v66, v68
	v_sub_f32_e32 v68, v75, v111
	v_add_f32_e32 v9, v9, v13
	v_sub_f32_e32 v13, v81, v122
	v_add_f32_e32 v10, v10, v39
	v_add_f32_e32 v66, v66, v68
	v_sub_f32_e32 v52, v79, v52
	v_add_f32_e32 v9, v9, v13
	v_sub_f32_e32 v13, v82, v64
	v_add_f32_e32 v10, v33, v10
	;; [unrolled: 5-line block ×5, first 2 shown]
	s_movk_i32 s16, 0x44
	v_add_f32_e32 v52, v60, v52
	v_sub_f32_e32 v60, v93, v123
	v_add_f32_e32 v9, v13, v9
	v_add_f32_e32 v10, v25, v10
	v_mad_u32_u24 v13, v0, s16, 0
	v_add_f32_e32 v52, v60, v52
	ds_write2_b32 v13, v10, v9 offset1:1
	ds_write2_b32 v13, v1, v12 offset0:2 offset1:3
	ds_write2_b32 v13, v52, v63 offset0:4 offset1:5
	;; [unrolled: 1-line block ×7, first 2 shown]
	ds_write_b32 v13, v8 offset:64
.LBB0_13:
	s_or_b64 exec, exec, s[2:3]
	v_sub_f32_e32 v91, v43, v25
	v_add_f32_e32 v87, v44, v26
	v_mul_f32_e32 v99, 0xbeb8f4ab, v91
	v_sub_f32_e32 v82, v45, v23
	v_fma_f32 v1, v87, s6, -v99
	v_mul_f32_e32 v100, 0xbf2c7751, v91
	v_add_f32_e32 v80, v46, v24
	v_mul_f32_e32 v94, 0xbf2c7751, v82
	v_add_f32_e32 v1, v11, v1
	v_fma_f32 v9, v87, s4, -v100
	v_mul_f32_e32 v101, 0xbf65296c, v91
	v_fma_f32 v14, v80, s4, -v94
	v_mul_f32_e32 v95, 0xbf7ee86f, v82
	v_add_f32_e32 v9, v11, v9
	v_fma_f32 v10, v87, s14, -v101
	v_mul_f32_e32 v102, 0xbf7ee86f, v91
	v_add_f32_e32 v1, v1, v14
	;; [unrolled: 3-line block ×5, first 2 shown]
	v_fma_f32 v13, v87, s15, -v103
	v_add_f32_e32 v10, v10, v14
	v_fma_f32 v14, v80, s10, -v97
	v_mul_f32_e32 v98, 0x3f06c442, v82
	v_sub_f32_e32 v74, v41, v19
	v_add_f32_e32 v13, v11, v13
	v_add_f32_e32 v12, v12, v14
	v_fma_f32 v14, v80, s7, -v98
	v_add_f32_e32 v73, v42, v20
	v_mul_f32_e32 v88, 0xbf65296c, v74
	v_add_f32_e32 v13, v13, v14
	v_fma_f32 v14, v73, s14, -v88
	v_mul_f32_e32 v89, 0xbf4c4adb, v74
	v_add_f32_e32 v1, v1, v14
	v_fma_f32 v14, v73, s5, -v89
	v_mul_f32_e32 v90, 0x3e3c28d5, v74
	v_add_f32_e32 v9, v9, v14
	v_fma_f32 v14, v73, s10, -v90
	v_mul_f32_e32 v92, 0x3f763a35, v74
	v_add_f32_e32 v10, v10, v14
	v_fma_f32 v14, v73, s15, -v92
	v_mul_f32_e32 v93, 0x3f2c7751, v74
	v_sub_f32_e32 v67, v37, v27
	v_add_f32_e32 v12, v12, v14
	v_fma_f32 v14, v73, s4, -v93
	v_add_f32_e32 v66, v38, v28
	v_mul_f32_e32 v81, 0xbf7ee86f, v67
	v_add_f32_e32 v13, v13, v14
	v_fma_f32 v14, v66, s11, -v81
	v_mul_f32_e32 v83, 0xbe3c28d5, v67
	v_add_f32_e32 v1, v1, v14
	v_fma_f32 v14, v66, s10, -v83
	v_mul_f32_e32 v84, 0x3f763a35, v67
	v_add_f32_e32 v9, v9, v14
	v_fma_f32 v14, v66, s15, -v84
	v_mul_f32_e32 v85, 0x3eb8f4ab, v67
	v_add_f32_e32 v10, v10, v14
	v_fma_f32 v14, v66, s6, -v85
	v_mul_f32_e32 v86, 0xbf65296c, v67
	v_sub_f32_e32 v60, v35, v33
	;; [unrolled: 17-line block ×5, first 2 shown]
	v_add_f32_e32 v19, v10, v12
	v_fma_f32 v10, v31, s6, -v65
	v_add_f32_e32 v17, v22, v16
	v_mul_f32_e32 v37, 0xbe3c28d5, v23
	v_add_f32_e32 v104, v10, v13
	v_fma_f32 v10, v17, s10, -v37
	v_mul_f32_e32 v39, 0x3eb8f4ab, v23
	v_add_f32_e32 v10, v10, v1
	v_fma_f32 v1, v17, s6, -v39
	;; [unrolled: 3-line block ×4, first 2 shown]
	v_add_f32_e32 v15, v1, v19
	v_lshl_add_u32 v1, v0, 2, 0
	v_add_u32_e32 v9, 0x400, v1
	v_add_u32_e32 v21, 0xf00, v1
	;; [unrolled: 1-line block ×5, first 2 shown]
	s_waitcnt lgkmcnt(0)
	s_barrier
	ds_read2_b32 v[49:50], v1 offset1:170
	ds_read2_b32 v[47:48], v9 offset0:84 offset1:254
	ds_read2_b32 v[57:58], v21 offset0:60 offset1:230
	;; [unrolled: 1-line block ×5, first 2 shown]
	v_mul_f32_e32 v45, 0xbf4c4adb, v23
	v_fma_f32 v14, v17, s5, -v45
	v_add_f32_e32 v14, v14, v104
	s_waitcnt lgkmcnt(0)
	s_barrier
	s_and_saveexec_b64 s[2:3], s[0:1]
	s_cbranch_execz .LBB0_15
; %bb.14:
	v_add_f32_e32 v44, v11, v44
	v_add_f32_e32 v44, v44, v46
	;; [unrolled: 1-line block ×13, first 2 shown]
	v_mul_f32_e32 v105, 0x3f3d2fb0, v87
	v_mul_f32_e32 v107, 0x3dbcf732, v87
	v_add_f32_e32 v16, v20, v16
	v_mul_f32_e32 v104, 0x3f6eb680, v87
	v_add_f32_e32 v16, v24, v16
	v_add_f32_e32 v24, v105, v100
	;; [unrolled: 1-line block ×3, first 2 shown]
	v_mul_f32_e32 v100, 0xbf4c4adb, v91
	v_mul_f32_e32 v102, 0xbf06c442, v91
	;; [unrolled: 1-line block ×5, first 2 shown]
	v_add_f32_e32 v20, v104, v99
	s_mov_b32 s0, 0xbf1a4643
	s_mov_b32 s1, 0xbf59a7d5
	s_mov_b32 s4, 0xbf7ba420
	v_mov_b32_e32 v104, v91
	v_mul_f32_e32 v109, 0x3f3d2fb0, v80
	v_add_f32_e32 v16, v26, v16
	v_add_f32_e32 v26, v106, v101
	;; [unrolled: 1-line block ×3, first 2 shown]
	v_fma_f32 v101, v87, s0, -v100
	v_fmac_f32_e32 v100, 0xbf1a4643, v87
	v_fma_f32 v103, v87, s1, -v102
	v_fmac_f32_e32 v102, 0xbf59a7d5, v87
	v_fmac_f32_e32 v104, 0xbf7ba420, v87
	v_fma_f32 v87, v87, s4, -v91
	v_mul_f32_e32 v110, 0x3dbcf732, v80
	v_add_f32_e32 v20, v11, v20
	v_add_f32_e32 v24, v11, v24
	;; [unrolled: 1-line block ×12, first 2 shown]
	v_mul_f32_e32 v111, 0xbf1a4643, v80
	v_add_f32_e32 v20, v20, v87
	v_add_f32_e32 v87, v110, v95
	v_mul_f32_e32 v112, 0xbf7ba420, v80
	v_add_f32_e32 v24, v24, v87
	v_add_f32_e32 v87, v111, v96
	v_mul_f32_e32 v91, 0x3f763a35, v82
	v_mul_f32_e32 v95, 0x3f65296c, v82
	;; [unrolled: 1-line block ×3, first 2 shown]
	v_add_f32_e32 v26, v26, v87
	v_add_f32_e32 v87, v112, v97
	s_mov_b32 s5, 0xbe8c1d8e
	s_mov_b32 s6, 0x3ee437d1
	s_mov_b32 s7, 0x3f6eb680
	v_mov_b32_e32 v97, v82
	v_mul_f32_e32 v113, 0xbf59a7d5, v80
	v_mul_f32_e32 v114, 0x3ee437d1, v73
	v_fma_f32 v94, v80, s5, -v91
	v_fmac_f32_e32 v91, 0xbe8c1d8e, v80
	v_fma_f32 v96, v80, s6, -v95
	v_fmac_f32_e32 v95, 0x3ee437d1, v80
	v_fmac_f32_e32 v97, 0x3f6eb680, v80
	v_fma_f32 v80, v80, s7, -v82
	v_mul_f32_e32 v115, 0xbf1a4643, v73
	v_add_f32_e32 v11, v11, v80
	v_add_f32_e32 v80, v114, v88
	v_mul_f32_e32 v116, 0xbf7ba420, v73
	v_add_f32_e32 v20, v20, v80
	v_add_f32_e32 v80, v115, v89
	;; [unrolled: 3-line block ×4, first 2 shown]
	v_add_f32_e32 v26, v26, v80
	v_add_f32_e32 v80, v117, v92
	v_mul_f32_e32 v82, 0xbeb8f4ab, v74
	v_mul_f32_e32 v88, 0xbf7ee86f, v74
	v_mul_f32_e32 v74, 0xbf06c442, v74
	v_add_f32_e32 v87, v99, v87
	v_add_f32_e32 v28, v28, v80
	;; [unrolled: 1-line block ×3, first 2 shown]
	s_mov_b32 s10, 0x3dbcf732
	v_mov_b32_e32 v90, v74
	v_mul_f32_e32 v119, 0x3dbcf732, v66
	v_add_f32_e32 v80, v87, v80
	v_fma_f32 v87, v73, s7, -v82
	v_fmac_f32_e32 v82, 0x3f6eb680, v73
	v_fma_f32 v89, v73, s10, -v88
	v_fmac_f32_e32 v88, 0x3dbcf732, v73
	v_fmac_f32_e32 v90, 0xbf59a7d5, v73
	v_fma_f32 v73, v73, s1, -v74
	v_mul_f32_e32 v120, 0xbf7ba420, v66
	v_add_f32_e32 v11, v11, v73
	v_add_f32_e32 v73, v119, v81
	v_mul_f32_e32 v121, 0xbe8c1d8e, v66
	v_add_f32_e32 v20, v20, v73
	v_add_f32_e32 v73, v120, v83
	;; [unrolled: 3-line block ×4, first 2 shown]
	v_add_f32_e32 v91, v100, v91
	v_add_f32_e32 v28, v28, v73
	;; [unrolled: 1-line block ×3, first 2 shown]
	v_mul_f32_e32 v73, 0xbf06c442, v67
	v_mul_f32_e32 v44, 0xbf59a7d5, v59
	v_add_f32_e32 v82, v91, v82
	v_add_f32_e32 v46, v80, v46
	v_fma_f32 v74, v66, s1, -v73
	v_fmac_f32_e32 v73, 0xbf59a7d5, v66
	v_mul_f32_e32 v80, 0x3f4c4adb, v67
	v_mul_f32_e32 v67, 0x3f2c7751, v67
	;; [unrolled: 1-line block ×3, first 2 shown]
	v_add_f32_e32 v73, v82, v73
	s_mov_b32 s1, 0x3f3d2fb0
	v_mov_b32_e32 v82, v67
	v_add_f32_e32 v44, v44, v76
	v_mul_f32_e32 v123, 0xbe8c1d8e, v59
	v_mul_f32_e32 v42, 0x3ee437d1, v59
	;; [unrolled: 1-line block ×3, first 2 shown]
	v_fma_f32 v81, v66, s0, -v80
	v_fmac_f32_e32 v80, 0xbf1a4643, v66
	v_fmac_f32_e32 v82, 0x3f3d2fb0, v66
	v_fma_f32 v66, v66, s1, -v67
	v_add_f32_e32 v24, v24, v44
	v_add_f32_e32 v44, v124, v77
	v_mul_f32_e32 v125, 0xbf7ba420, v59
	v_mul_f32_e32 v38, 0xbf1a4643, v33
	;; [unrolled: 1-line block ×3, first 2 shown]
	v_add_f32_e32 v94, v101, v94
	v_add_f32_e32 v11, v11, v66
	;; [unrolled: 1-line block ×6, first 2 shown]
	v_mul_f32_e32 v126, 0xbe8c1d8e, v33
	v_mul_f32_e32 v32, 0x3dbcf732, v33
	v_add_f32_e32 v87, v94, v87
	v_add_f32_e32 v20, v20, v66
	;; [unrolled: 1-line block ×4, first 2 shown]
	v_mul_f32_e32 v44, 0x3f7ee86f, v60
	v_add_f32_e32 v38, v38, v68
	v_add_f32_e32 v26, v26, v36
	;; [unrolled: 1-line block ×5, first 2 shown]
	v_fma_f32 v46, v59, s10, -v44
	v_fmac_f32_e32 v44, 0x3dbcf732, v59
	v_mul_f32_e32 v66, 0xbeb8f4ab, v60
	v_mul_f32_e32 v60, 0xbf4c4adb, v60
	v_add_f32_e32 v20, v20, v38
	v_add_f32_e32 v38, v126, v69
	;; [unrolled: 1-line block ×4, first 2 shown]
	v_mul_f32_e32 v36, 0xbf2c7751, v35
	v_add_f32_e32 v44, v73, v44
	v_add_f32_e32 v46, v74, v46
	v_mov_b32_e32 v73, v60
	v_add_f32_e32 v24, v24, v38
	v_add_f32_e32 v32, v42, v32
	v_fma_f32 v38, v33, s1, -v36
	v_mul_f32_e32 v42, 0xbe3c28d5, v35
	v_mul_f32_e32 v35, 0x3f65296c, v35
	v_fma_f32 v67, v59, s7, -v66
	v_fmac_f32_e32 v66, 0x3f6eb680, v59
	v_fmac_f32_e32 v73, 0xbf1a4643, v59
	v_fma_f32 v59, v59, s0, -v60
	v_fmac_f32_e32 v36, 0x3f3d2fb0, v33
	v_add_f32_e32 v38, v46, v38
	v_mov_b32_e32 v46, v35
	v_mul_f32_e32 v128, 0xbf59a7d5, v31
	v_add_f32_e32 v11, v11, v59
	v_add_f32_e32 v36, v44, v36
	v_fma_f32 v44, v33, s4, -v42
	v_fmac_f32_e32 v42, 0xbf7ba420, v33
	v_fmac_f32_e32 v46, 0x3ee437d1, v33
	v_fma_f32 v33, v33, s6, -v35
	v_mul_f32_e32 v30, 0x3ee437d1, v31
	v_mul_f32_e32 v18, 0xbf7ba420, v17
	v_add_f32_e32 v11, v11, v33
	v_add_f32_e32 v33, v128, v61
	v_mul_f32_e32 v129, 0x3dbcf732, v31
	v_mul_f32_e32 v131, 0x3f6eb680, v17
	v_add_f32_e32 v20, v33, v20
	v_add_f32_e32 v30, v30, v62
	;; [unrolled: 1-line block ×3, first 2 shown]
	v_mul_f32_e32 v22, 0xbf1a4643, v31
	v_mul_f32_e32 v40, 0xbf59a7d5, v17
	v_add_f32_e32 v24, v30, v24
	v_add_f32_e32 v30, v129, v63
	;; [unrolled: 1-line block ×4, first 2 shown]
	v_mul_f32_e32 v130, 0x3f6eb680, v31
	v_mul_f32_e32 v132, 0x3f3d2fb0, v17
	v_add_f32_e32 v26, v30, v26
	v_add_f32_e32 v22, v22, v64
	;; [unrolled: 1-line block ×4, first 2 shown]
	v_mul_f32_e32 v34, 0xbf1a4643, v17
	v_add_f32_e32 v22, v22, v28
	v_add_f32_e32 v28, v130, v65
	v_mul_f32_e32 v30, 0xbe3c28d5, v29
	v_add_f32_e32 v24, v24, v26
	v_add_f32_e32 v26, v132, v43
	v_add_f32_e32 v28, v28, v32
	v_fma_f32 v32, v31, s4, -v30
	v_fmac_f32_e32 v30, 0xbf7ba420, v31
	v_mul_f32_e32 v33, 0x3f2c7751, v29
	v_mul_f32_e32 v29, 0xbf763a35, v29
	v_add_f32_e32 v22, v26, v22
	v_add_f32_e32 v26, v34, v45
	;; [unrolled: 1-line block ×6, first 2 shown]
	v_mov_b32_e32 v36, v29
	v_fma_f32 v29, v31, s5, -v29
	v_add_f32_e32 v26, v26, v28
	v_mul_f32_e32 v28, 0x3f65296c, v23
	v_add_f32_e32 v88, v95, v88
	v_add_f32_e32 v89, v96, v89
	;; [unrolled: 1-line block ×4, first 2 shown]
	v_fma_f32 v29, v17, s6, -v28
	v_fmac_f32_e32 v28, 0x3ee437d1, v17
	v_add_f32_e32 v80, v88, v80
	v_add_f32_e32 v81, v89, v81
	;; [unrolled: 1-line block ×5, first 2 shown]
	v_mul_f32_e32 v30, 0xbf763a35, v23
	v_mul_f32_e32 v23, 0x3f7ee86f, v23
	v_add_f32_e32 v66, v80, v66
	v_add_f32_e32 v67, v81, v67
	;; [unrolled: 1-line block ×4, first 2 shown]
	v_mov_b32_e32 v32, v23
	v_add_f32_e32 v42, v66, v42
	v_add_f32_e32 v44, v67, v44
	;; [unrolled: 1-line block ×3, first 2 shown]
	v_fma_f32 v35, v31, s1, -v33
	v_fmac_f32_e32 v33, 0x3f3d2fb0, v31
	v_fmac_f32_e32 v36, 0xbe8c1d8e, v31
	v_fma_f32 v31, v17, s5, -v30
	v_fmac_f32_e32 v30, 0xbe8c1d8e, v17
	v_fmac_f32_e32 v32, 0x3dbcf732, v17
	v_fma_f32 v17, v17, s10, -v23
	v_add_f32_e32 v33, v33, v42
	v_add_f32_e32 v35, v35, v44
	;; [unrolled: 1-line block ×4, first 2 shown]
	v_lshl_add_u32 v17, v0, 6, v1
	v_add_f32_e32 v30, v30, v33
	v_add_f32_e32 v31, v31, v35
	;; [unrolled: 1-line block ×3, first 2 shown]
	ds_write2_b32 v17, v16, v18 offset1:1
	ds_write2_b32 v17, v20, v24 offset0:2 offset1:3
	ds_write2_b32 v17, v22, v26 offset0:4 offset1:5
	;; [unrolled: 1-line block ×7, first 2 shown]
	ds_write_b32 v17, v10 offset:64
.LBB0_15:
	s_or_b64 exec, exec, s[2:3]
	s_movk_i32 s0, 0xf1
	v_mul_lo_u16_sdwa v16, v0, s0 dst_sel:DWORD dst_unused:UNUSED_PAD src0_sel:BYTE_0 src1_sel:DWORD
	v_lshrrev_b16_e32 v18, 12, v16
	v_mul_lo_u16_e32 v16, 17, v18
	v_add_u32_e32 v44, 0xaa, v0
	v_sub_u16_e32 v20, v0, v16
	v_mov_b32_e32 v16, 3
	s_mov_b32 s0, 0xf0f1
	v_mul_u32_u24_sdwa v16, v20, v16 dst_sel:DWORD dst_unused:UNUSED_PAD src0_sel:BYTE_0 src1_sel:DWORD
	v_mul_u32_u24_sdwa v24, v44, s0 dst_sel:DWORD dst_unused:UNUSED_PAD src0_sel:WORD_0 src1_sel:DWORD
	v_lshlrev_b32_e32 v22, 3, v16
	v_lshrrev_b32_e32 v26, 20, v24
	s_waitcnt lgkmcnt(0)
	s_barrier
	global_load_dwordx2 v[16:17], v22, s[8:9] offset:16
	global_load_dwordx4 v[28:31], v22, s[8:9]
	v_mul_lo_u16_e32 v22, 17, v26
	v_add_u32_e32 v11, 0x154, v0
	v_sub_u16_e32 v67, v44, v22
	v_mul_u32_u24_e32 v22, 3, v67
	v_mul_u32_u24_sdwa v68, v11, s0 dst_sel:DWORD dst_unused:UNUSED_PAD src0_sel:WORD_0 src1_sel:DWORD
	v_lshlrev_b32_e32 v36, 3, v22
	v_lshrrev_b32_e32 v69, 20, v68
	global_load_dwordx2 v[22:23], v36, s[8:9] offset:16
	global_load_dwordx4 v[32:35], v36, s[8:9]
	v_mul_lo_u16_e32 v36, 17, v69
	v_sub_u16_e32 v70, v11, v36
	v_mul_u32_u24_e32 v36, 3, v70
	v_lshlrev_b32_e32 v42, 3, v36
	global_load_dwordx4 v[36:39], v42, s[8:9]
	global_load_dwordx2 v[40:41], v42, s[8:9] offset:16
	ds_read2_b32 v[42:43], v1 offset1:170
	ds_read2_b32 v[45:46], v9 offset0:84 offset1:254
	ds_read2_b32 v[59:60], v21 offset0:60 offset1:230
	;; [unrolled: 1-line block ×5, first 2 shown]
	v_mul_u32_u24_e32 v18, 0x110, v18
	s_waitcnt vmcnt(0) lgkmcnt(0)
	s_barrier
	s_movk_i32 s1, 0x79
	v_lshrrev_b32_e32 v68, 22, v68
	v_mul_f32_e32 v73, v62, v17
	v_mul_f32_e32 v71, v46, v29
	;; [unrolled: 1-line block ×6, first 2 shown]
	v_fma_f32 v48, v48, v28, -v71
	v_fmac_f32_e32 v29, v46, v28
	v_fma_f32 v28, v57, v30, -v72
	v_fmac_f32_e32 v31, v59, v30
	v_fma_f32 v30, v52, v16, -v73
	v_mul_f32_e32 v74, v63, v33
	v_mul_f32_e32 v33, v55, v33
	;; [unrolled: 1-line block ×12, first 2 shown]
	v_fmac_f32_e32 v17, v62, v16
	v_sub_f32_e32 v28, v49, v28
	v_sub_f32_e32 v30, v48, v30
	v_fma_f32 v16, v55, v32, -v74
	v_fmac_f32_e32 v33, v63, v32
	v_fma_f32 v32, v58, v34, -v75
	v_fmac_f32_e32 v35, v60, v34
	v_fma_f32 v34, v53, v22, -v76
	v_fmac_f32_e32 v23, v65, v22
	v_fma_f32 v22, v56, v36, -v77
	v_fmac_f32_e32 v37, v64, v36
	v_fma_f32 v36, v51, v38, -v78
	v_fmac_f32_e32 v39, v61, v38
	v_fma_f32 v38, v54, v40, -v79
	v_fmac_f32_e32 v41, v66, v40
	v_sub_f32_e32 v17, v29, v17
	v_fma_f32 v40, v49, 2.0, -v28
	v_fma_f32 v46, v48, 2.0, -v30
	v_mov_b32_e32 v66, 2
	v_sub_f32_e32 v32, v50, v32
	v_fma_f32 v29, v29, 2.0, -v17
	v_sub_f32_e32 v17, v28, v17
	v_sub_f32_e32 v46, v40, v46
	;; [unrolled: 1-line block ×3, first 2 shown]
	v_lshlrev_b32_sdwa v20, v66, v20 dst_sel:DWORD dst_unused:UNUSED_PAD src0_sel:DWORD src1_sel:BYTE_0
	v_fma_f32 v48, v50, 2.0, -v32
	v_fma_f32 v28, v28, 2.0, -v17
	;; [unrolled: 1-line block ×3, first 2 shown]
	v_sub_f32_e32 v23, v33, v23
	v_fma_f32 v16, v16, 2.0, -v34
	v_add3_u32 v18, 0, v18, v20
	v_sub_f32_e32 v31, v42, v31
	v_fma_f32 v33, v33, 2.0, -v23
	v_sub_f32_e32 v16, v48, v16
	v_sub_f32_e32 v23, v32, v23
	;; [unrolled: 1-line block ×4, first 2 shown]
	ds_write2_b32 v18, v40, v28 offset1:17
	ds_write2_b32 v18, v46, v17 offset0:34 offset1:51
	v_mul_u32_u24_e32 v17, 0x110, v26
	v_lshlrev_b32_e32 v20, 2, v67
	v_sub_f32_e32 v35, v43, v35
	v_fma_f32 v42, v42, 2.0, -v31
	v_fma_f32 v48, v48, 2.0, -v16
	;; [unrolled: 1-line block ×3, first 2 shown]
	v_sub_f32_e32 v39, v45, v39
	v_fma_f32 v47, v47, 2.0, -v36
	v_sub_f32_e32 v41, v37, v41
	v_fma_f32 v22, v22, 2.0, -v38
	v_add3_u32 v20, 0, v17, v20
	v_add_f32_e32 v30, v31, v30
	v_sub_f32_e32 v29, v42, v29
	v_fma_f32 v43, v43, 2.0, -v35
	v_fma_f32 v45, v45, 2.0, -v39
	;; [unrolled: 1-line block ×3, first 2 shown]
	v_sub_f32_e32 v22, v47, v22
	v_sub_f32_e32 v41, v36, v41
	ds_write2_b32 v20, v48, v32 offset1:17
	ds_write2_b32 v20, v16, v23 offset0:34 offset1:51
	v_mul_u32_u24_e32 v16, 0x110, v69
	v_lshlrev_b32_e32 v17, 2, v70
	v_fma_f32 v31, v31, 2.0, -v30
	v_fma_f32 v42, v42, 2.0, -v29
	v_sub_f32_e32 v33, v43, v33
	v_add_f32_e32 v34, v35, v34
	v_sub_f32_e32 v37, v45, v37
	v_fma_f32 v47, v47, 2.0, -v22
	v_add_f32_e32 v49, v39, v38
	v_fma_f32 v36, v36, 2.0, -v41
	v_add3_u32 v23, 0, v16, v17
	v_fma_f32 v43, v43, 2.0, -v33
	v_fma_f32 v35, v35, 2.0, -v34
	;; [unrolled: 1-line block ×4, first 2 shown]
	ds_write2_b32 v23, v47, v36 offset1:17
	ds_write2_b32 v23, v22, v41 offset0:34 offset1:51
	s_waitcnt lgkmcnt(0)
	s_barrier
	ds_read2_b32 v[58:59], v1 offset1:170
	ds_read2_b32 v[38:39], v27 offset0:40 offset1:210
	ds_read2_b32 v[46:47], v19 offset0:80 offset1:250
	;; [unrolled: 1-line block ×5, first 2 shown]
	s_waitcnt lgkmcnt(0)
	s_barrier
	ds_write2_b32 v18, v42, v31 offset1:17
	ds_write2_b32 v18, v29, v30 offset0:34 offset1:51
	ds_write2_b32 v20, v43, v35 offset1:17
	ds_write2_b32 v20, v33, v34 offset0:34 offset1:51
	;; [unrolled: 2-line block ×3, first 2 shown]
	v_mul_lo_u16_sdwa v18, v0, s1 dst_sel:DWORD dst_unused:UNUSED_PAD src0_sel:BYTE_0 src1_sel:DWORD
	v_lshrrev_b16_e32 v67, 13, v18
	v_mul_lo_u16_e32 v18, 0x44, v67
	v_sub_u16_e32 v69, v0, v18
	v_mov_b32_e32 v18, 4
	v_lshlrev_b32_sdwa v18, v18, v69 dst_sel:DWORD dst_unused:UNUSED_PAD src0_sel:DWORD src1_sel:BYTE_0
	v_lshrrev_b32_e32 v70, 22, v24
	s_waitcnt lgkmcnt(0)
	s_barrier
	global_load_dwordx4 v[28:31], v18, s[8:9] offset:408
	v_mul_lo_u16_e32 v18, 0x44, v70
	v_sub_u16_e32 v71, v44, v18
	v_lshlrev_b32_e32 v18, 4, v71
	global_load_dwordx4 v[32:35], v18, s[8:9] offset:408
	v_mul_lo_u16_e32 v18, 0x44, v68
	v_sub_u16_e32 v72, v11, v18
	v_lshlrev_b32_e32 v11, 4, v72
	global_load_dwordx4 v[50:53], v11, s[8:9] offset:408
	v_add_u32_e32 v11, 0x1fe, v0
	v_mul_u32_u24_sdwa v18, v11, s0 dst_sel:DWORD dst_unused:UNUSED_PAD src0_sel:WORD_0 src1_sel:DWORD
	v_lshrrev_b32_e32 v73, 22, v18
	v_mul_lo_u16_e32 v18, 0x44, v73
	v_sub_u16_e32 v74, v11, v18
	v_lshlrev_b32_e32 v11, 4, v74
	global_load_dwordx4 v[54:57], v11, s[8:9] offset:408
	ds_read2_b32 v[22:23], v1 offset1:170
	ds_read2_b32 v[41:42], v27 offset0:40 offset1:210
	ds_read2_b32 v[64:65], v19 offset0:80 offset1:250
	;; [unrolled: 1-line block ×5, first 2 shown]
	s_waitcnt vmcnt(0) lgkmcnt(0)
	s_barrier
	v_cmp_gt_u32_e64 s[0:1], 34, v0
	v_mul_f32_e32 v9, v41, v29
	v_fma_f32 v37, v38, v28, -v9
	v_mul_f32_e32 v9, v64, v31
	v_mul_f32_e32 v43, v38, v29
	v_fma_f32 v45, v46, v30, -v9
	v_mul_f32_e32 v9, v42, v33
	v_fmac_f32_e32 v43, v41, v28
	v_fma_f32 v27, v39, v32, -v9
	v_mul_f32_e32 v41, v39, v33
	v_mul_f32_e32 v9, v65, v35
	v_fmac_f32_e32 v41, v42, v32
	v_fma_f32 v42, v47, v34, -v9
	v_mul_f32_e32 v9, v20, v51
	v_mul_f32_e32 v38, v60, v51
	;; [unrolled: 1-line block ×3, first 2 shown]
	v_fma_f32 v26, v60, v50, -v9
	v_fmac_f32_e32 v38, v20, v50
	v_mul_f32_e32 v9, v24, v53
	v_add_f32_e32 v20, v37, v45
	v_fmac_f32_e32 v49, v64, v30
	v_mul_f32_e32 v48, v47, v35
	v_fma_f32 v40, v62, v52, -v9
	v_mul_f32_e32 v46, v62, v53
	v_mul_f32_e32 v9, v21, v55
	v_mul_f32_e32 v36, v61, v55
	v_mul_f32_e32 v47, v63, v57
	v_fma_f32 v20, -0.5, v20, v58
	v_fmac_f32_e32 v46, v24, v52
	v_fma_f32 v11, v61, v54, -v9
	v_fmac_f32_e32 v36, v21, v54
	v_mul_f32_e32 v9, v25, v57
	v_fmac_f32_e32 v47, v25, v56
	v_sub_f32_e32 v21, v43, v49
	v_mov_b32_e32 v24, v20
	v_add_f32_e32 v25, v27, v42
	v_fmac_f32_e32 v48, v65, v34
	v_fmac_f32_e32 v24, 0x3f5db3d7, v21
	v_fmac_f32_e32 v20, 0xbf5db3d7, v21
	v_add_f32_e32 v21, v59, v27
	v_fmac_f32_e32 v59, -0.5, v25
	v_add_f32_e32 v29, v26, v40
	v_sub_f32_e32 v25, v41, v48
	v_mov_b32_e32 v28, v59
	v_fma_f32 v29, -0.5, v29, v16
	v_fmac_f32_e32 v28, 0x3f5db3d7, v25
	v_fmac_f32_e32 v59, 0xbf5db3d7, v25
	v_add_f32_e32 v25, v16, v26
	v_sub_f32_e32 v16, v38, v46
	v_mov_b32_e32 v30, v29
	v_fma_f32 v39, v63, v56, -v9
	v_fmac_f32_e32 v30, 0x3f5db3d7, v16
	v_fmac_f32_e32 v29, 0xbf5db3d7, v16
	v_add_f32_e32 v16, v17, v11
	v_add_f32_e32 v31, v16, v39
	;; [unrolled: 1-line block ×3, first 2 shown]
	v_fmac_f32_e32 v17, -0.5, v16
	v_sub_f32_e32 v32, v36, v47
	v_mov_b32_e32 v16, v17
	v_add_f32_e32 v9, v58, v37
	v_fmac_f32_e32 v16, 0x3f5db3d7, v32
	v_fmac_f32_e32 v17, 0xbf5db3d7, v32
	v_mul_u32_u24_e32 v32, 0x330, v67
	v_lshlrev_b32_sdwa v33, v66, v69 dst_sel:DWORD dst_unused:UNUSED_PAD src0_sel:DWORD src1_sel:BYTE_0
	v_add_f32_e32 v9, v9, v45
	v_add3_u32 v50, 0, v32, v33
	ds_write2_b32 v50, v9, v24 offset1:68
	ds_write_b32 v50, v20 offset:544
	v_mul_u32_u24_e32 v9, 0x330, v70
	v_lshlrev_b32_e32 v20, 2, v71
	v_add3_u32 v51, 0, v9, v20
	v_mul_u32_u24_e32 v9, 0x330, v68
	v_lshlrev_b32_e32 v20, 2, v72
	v_add3_u32 v52, 0, v9, v20
	v_mul_u32_u24_e32 v9, 0x330, v73
	v_lshlrev_b32_e32 v20, 2, v74
	v_add_f32_e32 v21, v21, v42
	v_add_f32_e32 v25, v25, v40
	v_add3_u32 v53, 0, v9, v20
	v_add_u32_e32 v54, 0x600, v1
	v_add_u32_e32 v55, 0xc00, v1
	;; [unrolled: 1-line block ×4, first 2 shown]
	ds_write2_b32 v51, v21, v28 offset1:68
	ds_write_b32 v51, v59 offset:544
	ds_write2_b32 v52, v25, v30 offset1:68
	ds_write_b32 v52, v29 offset:544
	;; [unrolled: 2-line block ×3, first 2 shown]
	s_waitcnt lgkmcnt(0)
	s_barrier
	ds_read2_b32 v[24:25], v1 offset1:204
	ds_read2_b32 v[28:29], v54 offset0:24 offset1:228
	ds_read2_b32 v[30:31], v55 offset0:48 offset1:252
	ds_read2_b32 v[32:33], v56 offset0:8 offset1:212
	ds_read2_b32 v[34:35], v57 offset0:32 offset1:236
                                        ; implicit-def: $vgpr21
	s_and_saveexec_b64 s[2:3], s[0:1]
	s_cbranch_execz .LBB0_17
; %bb.16:
	v_add_u32_e32 v4, 0x200, v1
	ds_read2_b32 v[16:17], v4 offset0:42 offset1:246
	v_add_u32_e32 v4, 0x900, v1
	ds_read2_b32 v[6:7], v4 offset0:2 offset1:206
	v_add_u32_e32 v4, 0xf00, v1
	v_add_u32_e32 v8, 0x1500, v1
	;; [unrolled: 1-line block ×3, first 2 shown]
	ds_read2_b32 v[4:5], v4 offset0:26 offset1:230
	ds_read2_b32 v[8:9], v8 offset0:50 offset1:254
	;; [unrolled: 1-line block ×3, first 2 shown]
.LBB0_17:
	s_or_b64 exec, exec, s[2:3]
	v_add_f32_e32 v58, v22, v43
	v_add_f32_e32 v43, v43, v49
	v_fma_f32 v22, -0.5, v43, v22
	v_sub_f32_e32 v37, v37, v45
	v_mov_b32_e32 v43, v22
	v_fmac_f32_e32 v43, 0xbf5db3d7, v37
	v_fmac_f32_e32 v22, 0x3f5db3d7, v37
	v_add_f32_e32 v37, v23, v41
	v_add_f32_e32 v41, v41, v48
	v_fmac_f32_e32 v23, -0.5, v41
	v_sub_f32_e32 v27, v27, v42
	v_mov_b32_e32 v41, v23
	v_fmac_f32_e32 v41, 0xbf5db3d7, v27
	v_fmac_f32_e32 v23, 0x3f5db3d7, v27
	v_add_f32_e32 v27, v18, v38
	v_add_f32_e32 v38, v38, v46
	v_fma_f32 v38, -0.5, v38, v18
	v_sub_f32_e32 v18, v26, v40
	v_mov_b32_e32 v26, v38
	v_fmac_f32_e32 v26, 0xbf5db3d7, v18
	v_fmac_f32_e32 v38, 0x3f5db3d7, v18
	v_add_f32_e32 v18, v19, v36
	v_add_f32_e32 v40, v18, v47
	;; [unrolled: 1-line block ×3, first 2 shown]
	v_fmac_f32_e32 v19, -0.5, v18
	v_add_f32_e32 v58, v58, v49
	v_add_f32_e32 v37, v37, v48
	;; [unrolled: 1-line block ×3, first 2 shown]
	v_sub_f32_e32 v11, v11, v39
	v_mov_b32_e32 v18, v19
	v_fmac_f32_e32 v18, 0xbf5db3d7, v11
	v_fmac_f32_e32 v19, 0x3f5db3d7, v11
	s_waitcnt lgkmcnt(0)
	s_barrier
	ds_write2_b32 v50, v58, v43 offset1:68
	ds_write_b32 v50, v22 offset:544
	ds_write2_b32 v51, v37, v41 offset1:68
	ds_write_b32 v51, v23 offset:544
	;; [unrolled: 2-line block ×4, first 2 shown]
	s_waitcnt lgkmcnt(0)
	s_barrier
	ds_read2_b32 v[26:27], v1 offset1:204
	ds_read2_b32 v[40:41], v54 offset0:24 offset1:228
	ds_read2_b32 v[36:37], v55 offset0:48 offset1:252
	ds_read2_b32 v[38:39], v56 offset0:8 offset1:212
	ds_read2_b32 v[42:43], v57 offset0:32 offset1:236
                                        ; implicit-def: $vgpr23
	s_and_saveexec_b64 s[2:3], s[0:1]
	s_cbranch_execz .LBB0_19
; %bb.18:
	v_add_u32_e32 v10, 0x200, v1
	ds_read2_b32 v[18:19], v10 offset0:42 offset1:246
	v_add_u32_e32 v10, 0x900, v1
	ds_read2_b32 v[14:15], v10 offset0:2 offset1:206
	;; [unrolled: 2-line block ×3, first 2 shown]
	v_add_u32_e32 v10, 0x1500, v1
	v_add_u32_e32 v1, 0x1c00, v1
	ds_read2_b32 v[10:11], v10 offset0:50 offset1:254
	ds_read2_b32 v[22:23], v1 offset0:10 offset1:214
.LBB0_19:
	s_or_b64 exec, exec, s[2:3]
	s_and_saveexec_b64 s[2:3], vcc
	s_cbranch_execz .LBB0_22
; %bb.20:
	v_mul_u32_u24_e32 v1, 9, v0
	v_lshlrev_b32_e32 v1, 3, v1
	global_load_dwordx4 v[45:48], v1, s[8:9] offset:1496
	global_load_dwordx4 v[49:52], v1, s[8:9] offset:1512
	;; [unrolled: 1-line block ×4, first 2 shown]
	global_load_dwordx2 v[61:62], v1, s[8:9] offset:1560
	s_mov_b32 s2, 0x3f167918
	s_mov_b32 s5, 0xbf167918
	s_mov_b32 s3, 0x3f737871
	s_mov_b32 s4, 0xbf737871
	s_movk_i32 s6, 0x1000
	s_waitcnt vmcnt(4)
	v_mul_f32_e32 v1, v28, v48
	s_waitcnt vmcnt(3)
	v_mul_f32_e32 v63, v30, v52
	;; [unrolled: 2-line block ×4, first 2 shown]
	s_waitcnt lgkmcnt(2)
	v_mul_f32_e32 v52, v36, v52
	v_mul_f32_e32 v48, v40, v48
	;; [unrolled: 1-line block ×4, first 2 shown]
	s_waitcnt vmcnt(0) lgkmcnt(0)
	v_mul_f32_e32 v68, v43, v62
	v_mul_f32_e32 v69, v39, v54
	;; [unrolled: 1-line block ×4, first 2 shown]
	v_fmac_f32_e32 v1, v40, v47
	v_fmac_f32_e32 v63, v36, v51
	;; [unrolled: 1-line block ×4, first 2 shown]
	v_fma_f32 v36, v30, v51, -v52
	v_fma_f32 v40, v28, v47, -v48
	;; [unrolled: 1-line block ×6, first 2 shown]
	v_mul_f32_e32 v58, v31, v58
	v_mul_f32_e32 v54, v33, v54
	v_fmac_f32_e32 v46, v27, v45
	v_sub_f32_e32 v27, v1, v63
	v_sub_f32_e32 v28, v64, v65
	v_sub_f32_e32 v31, v47, v48
	v_sub_f32_e32 v33, v51, v52
	v_mul_f32_e32 v50, v29, v50
	v_mul_f32_e32 v62, v35, v62
	v_fmac_f32_e32 v58, v37, v57
	v_sub_f32_e32 v57, v48, v47
	v_add_f32_e32 v27, v27, v28
	v_add_f32_e32 v28, v31, v33
	v_sub_f32_e32 v31, v52, v51
	v_fma_f32 v25, v25, v45, -v70
	v_fmac_f32_e32 v50, v41, v49
	v_fmac_f32_e32 v62, v43, v61
	;; [unrolled: 1-line block ×3, first 2 shown]
	v_add_f32_e32 v57, v57, v31
	v_add_f32_e32 v31, v47, v51
	v_mul_f32_e32 v56, v42, v56
	v_fma_f32 v66, -0.5, v31, v25
	v_sub_f32_e32 v31, v58, v50
	v_sub_f32_e32 v68, v54, v62
	v_mul_f32_e32 v60, v38, v60
	v_fma_f32 v42, v34, v55, -v56
	v_add_f32_e32 v29, v63, v65
	v_sub_f32_e32 v39, v50, v58
	v_sub_f32_e32 v41, v62, v54
	v_add_f32_e32 v49, v58, v54
	v_add_f32_e32 v56, v1, v64
	v_add_f32_e32 v68, v31, v68
	v_add_f32_e32 v31, v50, v62
	v_fma_f32 v38, v32, v59, -v60
	v_fma_f32 v59, -0.5, v29, v26
	v_add_f32_e32 v39, v39, v41
	v_fma_f32 v41, -0.5, v49, v46
	v_fma_f32 v49, -0.5, v56, v26
	;; [unrolled: 1-line block ×3, first 2 shown]
	v_add_f32_e32 v26, v26, v1
	v_add_f32_e32 v34, v48, v52
	v_sub_f32_e32 v43, v48, v52
	v_mov_b32_e32 v70, v69
	v_add_f32_e32 v26, v26, v63
	v_sub_f32_e32 v45, v47, v51
	v_sub_f32_e32 v53, v63, v1
	;; [unrolled: 1-line block ×3, first 2 shown]
	v_fma_f32 v34, -0.5, v34, v25
	v_mov_b32_e32 v56, v41
	v_fmac_f32_e32 v70, 0xbf737871, v43
	v_fmac_f32_e32 v69, 0x3f737871, v43
	v_add_f32_e32 v26, v26, v65
	v_sub_f32_e32 v35, v50, v62
	v_add_f32_e32 v33, v53, v55
	v_mov_b32_e32 v55, v34
	v_fmac_f32_e32 v56, 0x3f737871, v45
	v_fmac_f32_e32 v70, 0x3f167918, v45
	;; [unrolled: 1-line block ×4, first 2 shown]
	v_add_f32_e32 v45, v64, v26
	v_add_f32_e32 v26, v50, v46
	v_sub_f32_e32 v37, v58, v54
	v_fmac_f32_e32 v55, 0xbf737871, v35
	v_fmac_f32_e32 v34, 0x3f737871, v35
	v_add_f32_e32 v26, v58, v26
	v_sub_f32_e32 v30, v36, v38
	v_sub_f32_e32 v32, v40, v42
	v_mov_b32_e32 v53, v59
	v_mov_b32_e32 v60, v49
	v_fmac_f32_e32 v55, 0xbf167918, v37
	v_fmac_f32_e32 v34, 0x3f167918, v37
	v_add_f32_e32 v26, v54, v26
	v_fmac_f32_e32 v53, 0x3f737871, v32
	v_fmac_f32_e32 v60, 0xbf737871, v30
	;; [unrolled: 1-line block ×7, first 2 shown]
	v_add_f32_e32 v46, v62, v26
	v_sub_f32_e32 v26, v40, v36
	v_sub_f32_e32 v28, v42, v38
	v_fmac_f32_e32 v53, 0x3f167918, v30
	v_fmac_f32_e32 v60, 0x3f167918, v32
	v_fmac_f32_e32 v56, 0x3e9e377a, v39
	v_fmac_f32_e32 v49, 0xbf167918, v32
	v_fmac_f32_e32 v59, 0xbf167918, v30
	v_add_f32_e32 v26, v26, v28
	v_add_f32_e32 v28, v36, v38
	v_sub_f32_e32 v30, v36, v40
	v_sub_f32_e32 v32, v38, v42
	v_mul_f32_e32 v29, 0x3f4f1bbd, v56
	v_fma_f32 v50, -0.5, v28, v24
	v_mul_f32_e32 v28, 0x3f4f1bbd, v55
	v_add_f32_e32 v32, v30, v32
	v_add_f32_e32 v30, v40, v42
	v_fma_f32 v61, v55, s5, -v29
	v_mov_b32_e32 v67, v66
	v_fma_f32 v55, v56, s2, -v28
	v_fma_f32 v56, -0.5, v30, v24
	v_fmac_f32_e32 v67, 0x3f737871, v37
	v_fmac_f32_e32 v66, 0xbf737871, v37
	;; [unrolled: 1-line block ×3, first 2 shown]
	v_sub_f32_e32 v1, v1, v64
	v_sub_f32_e32 v37, v63, v65
	v_mov_b32_e32 v58, v56
	v_fmac_f32_e32 v41, 0x3e9e377a, v39
	v_mov_b32_e32 v54, v50
	v_fmac_f32_e32 v58, 0x3f737871, v37
	v_fmac_f32_e32 v56, 0xbf737871, v37
	;; [unrolled: 1-line block ×3, first 2 shown]
	v_add_f32_e32 v24, v24, v40
	v_mul_f32_e32 v43, 0xbf167918, v34
	v_fmac_f32_e32 v54, 0xbf737871, v1
	v_fmac_f32_e32 v58, 0xbf167918, v1
	;; [unrolled: 1-line block ×4, first 2 shown]
	v_mul_f32_e32 v1, 0x3f167918, v41
	v_add_f32_e32 v24, v24, v36
	v_fmac_f32_e32 v59, 0x3e9e377a, v27
	v_fmac_f32_e32 v43, 0x3f4f1bbd, v41
	;; [unrolled: 1-line block ×4, first 2 shown]
	v_add_f32_e32 v24, v24, v38
	v_fmac_f32_e32 v53, 0x3e9e377a, v27
	v_fmac_f32_e32 v67, 0xbf167918, v35
	;; [unrolled: 1-line block ×3, first 2 shown]
	v_sub_f32_e32 v35, v59, v43
	v_sub_f32_e32 v27, v45, v46
	;; [unrolled: 1-line block ×3, first 2 shown]
	v_add_f32_e32 v42, v42, v24
	v_add_f32_e32 v24, v47, v25
	;; [unrolled: 1-line block ×5, first 2 shown]
	v_mov_b32_e32 v1, 0
	v_mov_b32_e32 v45, s13
	v_add_co_u32_e32 v46, vcc, s12, v2
	v_fmac_f32_e32 v69, 0x3e9e377a, v68
	v_add_f32_e32 v24, v48, v24
	v_addc_co_u32_e32 v45, vcc, v45, v3, vcc
	v_lshlrev_b64 v[2:3], 3, v[0:1]
	v_fmac_f32_e32 v66, 0x3e9e377a, v57
	v_mul_f32_e32 v63, 0x3f737871, v69
	v_add_f32_e32 v24, v52, v24
	v_fmac_f32_e32 v67, 0x3e9e377a, v57
	v_fmac_f32_e32 v70, 0x3e9e377a, v68
	v_mul_f32_e32 v57, 0xbf737871, v66
	v_fmac_f32_e32 v54, 0xbf167918, v37
	v_fmac_f32_e32 v56, 0x3e9e377a, v32
	;; [unrolled: 1-line block ×3, first 2 shown]
	v_add_f32_e32 v47, v51, v24
	v_add_co_u32_e32 v2, vcc, v46, v2
	v_mul_f32_e32 v31, 0x3e9e377a, v70
	v_fmac_f32_e32 v49, 0x3e9e377a, v33
	v_fmac_f32_e32 v57, 0x3e9e377a, v69
	;; [unrolled: 1-line block ×3, first 2 shown]
	v_mul_f32_e32 v30, 0x3e9e377a, v67
	v_sub_f32_e32 v26, v42, v47
	v_add_f32_e32 v24, v56, v63
	v_add_f32_e32 v42, v42, v47
	v_addc_co_u32_e32 v3, vcc, v45, v3, vcc
	v_fmac_f32_e32 v60, 0x3e9e377a, v33
	v_fma_f32 v71, v67, s4, -v31
	v_fmac_f32_e32 v58, 0x3e9e377a, v32
	v_fma_f32 v62, v70, s3, -v30
	v_add_f32_e32 v25, v49, v57
	global_store_dwordx2 v[2:3], v[42:43], off
	global_store_dwordx2 v[2:3], v[40:41], off offset:1632
	global_store_dwordx2 v[2:3], v[24:25], off offset:3264
	v_add_co_u32_e32 v24, vcc, s6, v2
	v_add_f32_e32 v39, v60, v71
	v_add_f32_e32 v38, v58, v62
	v_addc_co_u32_e32 v25, vcc, 0, v3, vcc
	s_movk_i32 s6, 0x2000
	v_add_f32_e32 v37, v53, v61
	v_add_f32_e32 v36, v54, v55
	global_store_dwordx2 v[24:25], v[38:39], off offset:800
	global_store_dwordx2 v[24:25], v[36:37], off offset:2432
	;; [unrolled: 1-line block ×3, first 2 shown]
	v_add_co_u32_e32 v26, vcc, s6, v2
	v_sub_f32_e32 v32, v56, v63
	v_addc_co_u32_e32 v27, vcc, 0, v3, vcc
	v_sub_f32_e32 v33, v49, v57
	global_store_dwordx2 v[26:27], v[34:35], off offset:1600
	global_store_dwordx2 v[26:27], v[32:33], off offset:3232
	v_add_co_u32_e32 v32, vcc, 0x3000, v2
	v_sub_f32_e32 v31, v60, v71
	v_sub_f32_e32 v30, v58, v62
	v_addc_co_u32_e32 v33, vcc, 0, v3, vcc
	v_sub_f32_e32 v29, v53, v61
	v_sub_f32_e32 v28, v54, v55
	global_store_dwordx2 v[32:33], v[30:31], off offset:768
	global_store_dwordx2 v[32:33], v[28:29], off offset:2400
	s_and_b64 exec, exec, s[0:1]
	s_cbranch_execz .LBB0_22
; %bb.21:
	v_subrev_u32_e32 v0, 34, v0
	v_cndmask_b32_e64 v0, v0, v44, s[0:1]
	v_mul_i32_i24_e32 v0, 9, v0
	v_lshlrev_b64 v[0:1], 3, v[0:1]
	v_mov_b32_e32 v28, s9
	v_add_co_u32_e32 v0, vcc, s8, v0
	v_addc_co_u32_e32 v1, vcc, v28, v1, vcc
	global_load_dwordx4 v[28:31], v[0:1], off offset:1496
	global_load_dwordx4 v[32:35], v[0:1], off offset:1512
	global_load_dwordx4 v[36:39], v[0:1], off offset:1528
	global_load_dwordx4 v[40:43], v[0:1], off offset:1544
	global_load_dwordx2 v[44:45], v[0:1], off offset:1560
	s_waitcnt vmcnt(4)
	v_mul_f32_e32 v0, v19, v29
	v_mul_f32_e32 v1, v14, v31
	;; [unrolled: 1-line block ×4, first 2 shown]
	s_waitcnt vmcnt(3)
	v_mul_f32_e32 v47, v12, v35
	s_waitcnt vmcnt(2)
	v_mul_f32_e32 v49, v10, v39
	v_mul_f32_e32 v39, v8, v39
	s_waitcnt vmcnt(1)
	v_mul_f32_e32 v51, v22, v43
	v_fma_f32 v17, v17, v28, -v0
	v_fma_f32 v0, v6, v30, -v1
	v_mul_f32_e32 v46, v15, v33
	v_mul_f32_e32 v33, v7, v33
	;; [unrolled: 1-line block ×6, first 2 shown]
	v_fmac_f32_e32 v31, v14, v30
	v_fma_f32 v4, v4, v34, -v47
	v_fma_f32 v6, v8, v38, -v49
	v_fmac_f32_e32 v39, v10, v38
	v_fma_f32 v8, v20, v42, -v51
	v_add_f32_e32 v10, v16, v0
	v_fmac_f32_e32 v29, v19, v28
	v_fmac_f32_e32 v33, v15, v32
	;; [unrolled: 1-line block ×5, first 2 shown]
	v_add_f32_e32 v11, v4, v6
	v_sub_f32_e32 v14, v0, v4
	v_sub_f32_e32 v15, v8, v6
	v_sub_f32_e32 v20, v4, v0
	v_add_f32_e32 v22, v18, v31
	v_sub_f32_e32 v28, v4, v6
	v_add_f32_e32 v4, v10, v4
	s_waitcnt vmcnt(0)
	v_mul_f32_e32 v52, v23, v45
	v_mul_f32_e32 v45, v21, v45
	v_add_f32_e32 v10, v14, v15
	v_add_f32_e32 v14, v22, v35
	;; [unrolled: 1-line block ×3, first 2 shown]
	v_fma_f32 v1, v7, v32, -v46
	v_fma_f32 v7, v9, v40, -v50
	;; [unrolled: 1-line block ×3, first 2 shown]
	v_fmac_f32_e32 v45, v23, v44
	v_sub_f32_e32 v21, v6, v8
	v_add_f32_e32 v23, v35, v39
	v_add_f32_e32 v6, v14, v39
	;; [unrolled: 1-line block ×4, first 2 shown]
	v_sub_f32_e32 v30, v31, v35
	v_sub_f32_e32 v32, v43, v39
	v_fma_f32 v22, -0.5, v23, v18
	v_fmac_f32_e32 v18, -0.5, v4
	v_add_f32_e32 v15, v30, v32
	v_mov_b32_e32 v32, v18
	v_mul_f32_e32 v48, v13, v37
	v_add_f32_e32 v19, v0, v8
	v_sub_f32_e32 v0, v0, v8
	v_mov_b32_e32 v23, v22
	v_fmac_f32_e32 v32, 0x3f737871, v28
	v_fmac_f32_e32 v18, 0xbf737871, v28
	v_mul_f32_e32 v37, v5, v37
	v_fma_f32 v5, v5, v36, -v48
	v_fma_f32 v34, -0.5, v11, v16
	v_fmac_f32_e32 v16, -0.5, v19
	v_fmac_f32_e32 v23, 0xbf737871, v0
	v_fmac_f32_e32 v22, 0x3f737871, v0
	;; [unrolled: 1-line block ×4, first 2 shown]
	v_add_f32_e32 v0, v17, v1
	v_fmac_f32_e32 v37, v13, v36
	v_sub_f32_e32 v13, v35, v39
	v_add_f32_e32 v11, v20, v21
	v_mov_b32_e32 v20, v16
	v_add_f32_e32 v0, v0, v5
	v_sub_f32_e32 v12, v31, v43
	v_mov_b32_e32 v19, v34
	v_fmac_f32_e32 v16, 0x3f737871, v13
	v_fmac_f32_e32 v20, 0xbf737871, v13
	v_add_f32_e32 v0, v0, v7
	v_fmac_f32_e32 v34, 0xbf737871, v12
	v_fmac_f32_e32 v19, 0x3f737871, v12
	;; [unrolled: 1-line block ×4, first 2 shown]
	v_add_f32_e32 v12, v0, v9
	v_add_f32_e32 v0, v5, v7
	;; [unrolled: 1-line block ×3, first 2 shown]
	v_fmac_f32_e32 v16, 0x3e9e377a, v11
	v_fmac_f32_e32 v20, 0x3e9e377a, v11
	v_sub_f32_e32 v4, v35, v31
	v_sub_f32_e32 v6, v39, v43
	v_fma_f32 v11, -0.5, v0, v17
	v_fmac_f32_e32 v34, 0xbf167918, v13
	v_fmac_f32_e32 v19, 0x3f167918, v13
	v_add_f32_e32 v4, v4, v6
	v_sub_f32_e32 v0, v33, v45
	v_mov_b32_e32 v13, v11
	v_fmac_f32_e32 v32, 0x3e9e377a, v4
	v_fmac_f32_e32 v18, 0x3e9e377a, v4
	;; [unrolled: 1-line block ×3, first 2 shown]
	v_sub_f32_e32 v4, v37, v41
	v_sub_f32_e32 v6, v1, v5
	;; [unrolled: 1-line block ×3, first 2 shown]
	v_fmac_f32_e32 v11, 0xbf737871, v0
	v_fmac_f32_e32 v13, 0x3f167918, v4
	v_add_f32_e32 v6, v6, v8
	v_fmac_f32_e32 v11, 0xbf167918, v4
	v_fmac_f32_e32 v13, 0x3e9e377a, v6
	;; [unrolled: 1-line block ×3, first 2 shown]
	v_add_f32_e32 v6, v1, v9
	v_fmac_f32_e32 v23, 0xbf167918, v28
	v_fmac_f32_e32 v22, 0x3f167918, v28
	v_fmac_f32_e32 v17, -0.5, v6
	v_fmac_f32_e32 v23, 0x3e9e377a, v15
	v_fmac_f32_e32 v22, 0x3e9e377a, v15
	v_mov_b32_e32 v15, v17
	v_fmac_f32_e32 v15, 0xbf737871, v4
	v_fmac_f32_e32 v17, 0x3f737871, v4
	v_fmac_f32_e32 v15, 0x3f167918, v0
	v_fmac_f32_e32 v17, 0xbf167918, v0
	v_add_f32_e32 v0, v29, v33
	v_add_f32_e32 v0, v0, v37
	;; [unrolled: 1-line block ×5, first 2 shown]
	v_fma_f32 v21, -0.5, v0, v29
	v_sub_f32_e32 v8, v7, v9
	v_sub_f32_e32 v0, v1, v9
	v_mov_b32_e32 v9, v21
	v_sub_f32_e32 v6, v5, v1
	v_fmac_f32_e32 v9, 0xbf737871, v0
	v_sub_f32_e32 v1, v5, v7
	v_sub_f32_e32 v4, v33, v37
	;; [unrolled: 1-line block ×3, first 2 shown]
	v_fmac_f32_e32 v21, 0x3f737871, v0
	v_fmac_f32_e32 v9, 0xbf167918, v1
	v_add_f32_e32 v4, v4, v5
	v_fmac_f32_e32 v21, 0x3f167918, v1
	v_fmac_f32_e32 v9, 0x3e9e377a, v4
	;; [unrolled: 1-line block ×3, first 2 shown]
	v_add_f32_e32 v4, v33, v45
	v_fmac_f32_e32 v29, -0.5, v4
	v_mov_b32_e32 v7, v29
	v_add_f32_e32 v6, v6, v8
	v_fmac_f32_e32 v7, 0x3f737871, v1
	v_sub_f32_e32 v4, v37, v33
	v_sub_f32_e32 v5, v41, v45
	v_fmac_f32_e32 v29, 0xbf737871, v1
	v_fmac_f32_e32 v17, 0x3e9e377a, v6
	;; [unrolled: 1-line block ×3, first 2 shown]
	v_add_f32_e32 v4, v4, v5
	v_fmac_f32_e32 v29, 0x3f167918, v0
	v_fmac_f32_e32 v15, 0x3e9e377a, v6
	;; [unrolled: 1-line block ×4, first 2 shown]
	v_mul_f32_e32 v31, 0x3f167918, v9
	v_mul_f32_e32 v1, 0x3e9e377a, v17
	;; [unrolled: 1-line block ×3, first 2 shown]
	v_fmac_f32_e32 v31, 0x3f4f1bbd, v13
	v_mul_f32_e32 v33, 0x3f737871, v7
	v_fma_f32 v35, v29, s3, -v1
	v_mul_f32_e32 v1, 0x3f4f1bbd, v11
	v_fmac_f32_e32 v37, 0x3f4f1bbd, v9
	v_mul_f32_e32 v38, 0xbf737871, v15
	v_mul_f32_e32 v9, 0x3e9e377a, v29
	;; [unrolled: 1-line block ×3, first 2 shown]
	v_fmac_f32_e32 v34, 0x3e9e377a, v10
	v_fmac_f32_e32 v19, 0x3e9e377a, v10
	v_add_f32_e32 v0, v14, v12
	v_fmac_f32_e32 v33, 0x3e9e377a, v15
	v_fma_f32 v36, v21, s2, -v1
	v_add_f32_e32 v1, v30, v28
	v_fmac_f32_e32 v38, 0x3e9e377a, v7
	v_fma_f32 v17, v17, s4, -v9
	v_fma_f32 v29, v11, s5, -v13
	v_add_f32_e32 v4, v19, v31
	v_add_f32_e32 v6, v20, v33
	;; [unrolled: 1-line block ×8, first 2 shown]
	v_sub_f32_e32 v12, v14, v12
	v_sub_f32_e32 v14, v19, v31
	;; [unrolled: 1-line block ×4, first 2 shown]
	global_store_dwordx2 v[2:3], v[0:1], off offset:1360
	global_store_dwordx2 v[2:3], v[4:5], off offset:2992
	;; [unrolled: 1-line block ×7, first 2 shown]
	v_add_co_u32_e32 v0, vcc, 0x3000, v2
	v_sub_f32_e32 v19, v20, v33
	v_sub_f32_e32 v20, v32, v38
	v_addc_co_u32_e32 v1, vcc, 0, v3, vcc
	v_sub_f32_e32 v16, v16, v35
	v_sub_f32_e32 v21, v34, v36
	;; [unrolled: 1-line block ×4, first 2 shown]
	global_store_dwordx2 v[0:1], v[19:20], off offset:496
	global_store_dwordx2 v[0:1], v[16:17], off offset:2128
	global_store_dwordx2 v[0:1], v[21:22], off offset:3760
.LBB0_22:
	s_endpgm
	.section	.rodata,"a",@progbits
	.p2align	6, 0x0
	.amdhsa_kernel fft_rtc_fwd_len2040_factors_17_4_3_10_wgs_170_tpt_170_halfLds_sp_ip_CI_unitstride_sbrr_dirReg
		.amdhsa_group_segment_fixed_size 0
		.amdhsa_private_segment_fixed_size 0
		.amdhsa_kernarg_size 88
		.amdhsa_user_sgpr_count 6
		.amdhsa_user_sgpr_private_segment_buffer 1
		.amdhsa_user_sgpr_dispatch_ptr 0
		.amdhsa_user_sgpr_queue_ptr 0
		.amdhsa_user_sgpr_kernarg_segment_ptr 1
		.amdhsa_user_sgpr_dispatch_id 0
		.amdhsa_user_sgpr_flat_scratch_init 0
		.amdhsa_user_sgpr_private_segment_size 0
		.amdhsa_uses_dynamic_stack 0
		.amdhsa_system_sgpr_private_segment_wavefront_offset 0
		.amdhsa_system_sgpr_workgroup_id_x 1
		.amdhsa_system_sgpr_workgroup_id_y 0
		.amdhsa_system_sgpr_workgroup_id_z 0
		.amdhsa_system_sgpr_workgroup_info 0
		.amdhsa_system_vgpr_workitem_id 0
		.amdhsa_next_free_vgpr 133
		.amdhsa_next_free_sgpr 22
		.amdhsa_reserve_vcc 1
		.amdhsa_reserve_flat_scratch 0
		.amdhsa_float_round_mode_32 0
		.amdhsa_float_round_mode_16_64 0
		.amdhsa_float_denorm_mode_32 3
		.amdhsa_float_denorm_mode_16_64 3
		.amdhsa_dx10_clamp 1
		.amdhsa_ieee_mode 1
		.amdhsa_fp16_overflow 0
		.amdhsa_exception_fp_ieee_invalid_op 0
		.amdhsa_exception_fp_denorm_src 0
		.amdhsa_exception_fp_ieee_div_zero 0
		.amdhsa_exception_fp_ieee_overflow 0
		.amdhsa_exception_fp_ieee_underflow 0
		.amdhsa_exception_fp_ieee_inexact 0
		.amdhsa_exception_int_div_zero 0
	.end_amdhsa_kernel
	.text
.Lfunc_end0:
	.size	fft_rtc_fwd_len2040_factors_17_4_3_10_wgs_170_tpt_170_halfLds_sp_ip_CI_unitstride_sbrr_dirReg, .Lfunc_end0-fft_rtc_fwd_len2040_factors_17_4_3_10_wgs_170_tpt_170_halfLds_sp_ip_CI_unitstride_sbrr_dirReg
                                        ; -- End function
	.section	.AMDGPU.csdata,"",@progbits
; Kernel info:
; codeLenInByte = 11628
; NumSgprs: 26
; NumVgprs: 133
; ScratchSize: 0
; MemoryBound: 0
; FloatMode: 240
; IeeeMode: 1
; LDSByteSize: 0 bytes/workgroup (compile time only)
; SGPRBlocks: 3
; VGPRBlocks: 33
; NumSGPRsForWavesPerEU: 26
; NumVGPRsForWavesPerEU: 133
; Occupancy: 1
; WaveLimiterHint : 1
; COMPUTE_PGM_RSRC2:SCRATCH_EN: 0
; COMPUTE_PGM_RSRC2:USER_SGPR: 6
; COMPUTE_PGM_RSRC2:TRAP_HANDLER: 0
; COMPUTE_PGM_RSRC2:TGID_X_EN: 1
; COMPUTE_PGM_RSRC2:TGID_Y_EN: 0
; COMPUTE_PGM_RSRC2:TGID_Z_EN: 0
; COMPUTE_PGM_RSRC2:TIDIG_COMP_CNT: 0
	.type	__hip_cuid_38bc90fe576e13f5,@object ; @__hip_cuid_38bc90fe576e13f5
	.section	.bss,"aw",@nobits
	.globl	__hip_cuid_38bc90fe576e13f5
__hip_cuid_38bc90fe576e13f5:
	.byte	0                               ; 0x0
	.size	__hip_cuid_38bc90fe576e13f5, 1

	.ident	"AMD clang version 19.0.0git (https://github.com/RadeonOpenCompute/llvm-project roc-6.4.0 25133 c7fe45cf4b819c5991fe208aaa96edf142730f1d)"
	.section	".note.GNU-stack","",@progbits
	.addrsig
	.addrsig_sym __hip_cuid_38bc90fe576e13f5
	.amdgpu_metadata
---
amdhsa.kernels:
  - .args:
      - .actual_access:  read_only
        .address_space:  global
        .offset:         0
        .size:           8
        .value_kind:     global_buffer
      - .offset:         8
        .size:           8
        .value_kind:     by_value
      - .actual_access:  read_only
        .address_space:  global
        .offset:         16
        .size:           8
        .value_kind:     global_buffer
      - .actual_access:  read_only
        .address_space:  global
        .offset:         24
        .size:           8
        .value_kind:     global_buffer
      - .offset:         32
        .size:           8
        .value_kind:     by_value
      - .actual_access:  read_only
        .address_space:  global
        .offset:         40
        .size:           8
        .value_kind:     global_buffer
      - .actual_access:  read_only
        .address_space:  global
        .offset:         48
        .size:           8
        .value_kind:     global_buffer
      - .offset:         56
        .size:           4
        .value_kind:     by_value
      - .actual_access:  read_only
        .address_space:  global
        .offset:         64
        .size:           8
        .value_kind:     global_buffer
      - .actual_access:  read_only
        .address_space:  global
        .offset:         72
        .size:           8
        .value_kind:     global_buffer
      - .address_space:  global
        .offset:         80
        .size:           8
        .value_kind:     global_buffer
    .group_segment_fixed_size: 0
    .kernarg_segment_align: 8
    .kernarg_segment_size: 88
    .language:       OpenCL C
    .language_version:
      - 2
      - 0
    .max_flat_workgroup_size: 170
    .name:           fft_rtc_fwd_len2040_factors_17_4_3_10_wgs_170_tpt_170_halfLds_sp_ip_CI_unitstride_sbrr_dirReg
    .private_segment_fixed_size: 0
    .sgpr_count:     26
    .sgpr_spill_count: 0
    .symbol:         fft_rtc_fwd_len2040_factors_17_4_3_10_wgs_170_tpt_170_halfLds_sp_ip_CI_unitstride_sbrr_dirReg.kd
    .uniform_work_group_size: 1
    .uses_dynamic_stack: false
    .vgpr_count:     133
    .vgpr_spill_count: 0
    .wavefront_size: 64
amdhsa.target:   amdgcn-amd-amdhsa--gfx906
amdhsa.version:
  - 1
  - 2
...

	.end_amdgpu_metadata
